;; amdgpu-corpus repo=ROCm/rocFFT kind=compiled arch=gfx906 opt=O3
	.text
	.amdgcn_target "amdgcn-amd-amdhsa--gfx906"
	.amdhsa_code_object_version 6
	.protected	bluestein_single_back_len176_dim1_half_op_CI_CI ; -- Begin function bluestein_single_back_len176_dim1_half_op_CI_CI
	.globl	bluestein_single_back_len176_dim1_half_op_CI_CI
	.p2align	8
	.type	bluestein_single_back_len176_dim1_half_op_CI_CI,@function
bluestein_single_back_len176_dim1_half_op_CI_CI: ; @bluestein_single_back_len176_dim1_half_op_CI_CI
; %bb.0:
	s_load_dwordx4 s[8:11], s[4:5], 0x28
	v_lshrrev_b32_e32 v1, 4, v0
	v_lshl_or_b32 v15, s6, 2, v1
	v_mov_b32_e32 v16, 0
	s_waitcnt lgkmcnt(0)
	v_cmp_gt_u64_e32 vcc, s[8:9], v[15:16]
	s_and_saveexec_b64 s[0:1], vcc
	s_cbranch_execz .LBB0_10
; %bb.1:
	s_load_dwordx4 s[0:3], s[4:5], 0x18
	s_load_dwordx4 s[12:15], s[4:5], 0x0
	v_and_b32_e32 v43, 15, v0
	v_lshlrev_b32_e32 v46, 2, v43
	v_mul_u32_u24_e32 v14, 0xb0, v1
	s_waitcnt lgkmcnt(0)
	s_load_dwordx4 s[16:19], s[0:1], 0x0
	global_load_dword v44, v46, s[12:13]
	v_lshl_or_b32 v34, v14, 2, v46
	s_mov_b32 s7, 0xb853
	s_mov_b32 s6, 0xb08e
	s_waitcnt lgkmcnt(0)
	v_mad_u64_u32 v[2:3], s[0:1], s18, v15, 0
	v_mad_u64_u32 v[4:5], s[0:1], s16, v43, 0
	v_mov_b32_e32 v0, v3
	s_movk_i32 s18, 0x3482
	v_mov_b32_e32 v3, v5
	v_mad_u64_u32 v[5:6], s[0:1], s19, v15, v[0:1]
	v_mad_u64_u32 v[6:7], s[0:1], s17, v43, v[3:4]
	v_mov_b32_e32 v3, v5
	v_lshlrev_b64 v[2:3], 2, v[2:3]
	v_mov_b32_e32 v5, v6
	v_mov_b32_e32 v0, s11
	v_lshlrev_b64 v[4:5], 2, v[4:5]
	v_add_co_u32_e32 v2, vcc, s10, v2
	v_addc_co_u32_e32 v0, vcc, v0, v3, vcc
	v_add_co_u32_e32 v2, vcc, v2, v4
	v_addc_co_u32_e32 v3, vcc, v0, v5, vcc
	s_lshl_b64 s[0:1], s[16:17], 6
	global_load_dword v0, v[2:3], off
	v_mov_b32_e32 v4, s1
	v_add_co_u32_e32 v2, vcc, s0, v2
	v_addc_co_u32_e32 v3, vcc, v3, v4, vcc
	global_load_dword v5, v[2:3], off
	global_load_dword v42, v46, s[12:13] offset:64
	v_add_co_u32_e32 v2, vcc, s0, v2
	v_addc_co_u32_e32 v3, vcc, v3, v4, vcc
	global_load_dword v6, v[2:3], off
	global_load_dword v41, v46, s[12:13] offset:128
	;; [unrolled: 4-line block ×10, first 2 shown]
	v_or_b32_e32 v1, v14, v43
	v_lshlrev_b32_e32 v45, 2, v1
	s_load_dwordx4 s[8:11], s[2:3], 0x0
	s_movk_i32 s0, 0x3abb
	s_mov_b32 s3, 0xbb47
	s_movk_i32 s1, 0x36a6
	s_mov_b32 s17, 0xba0c
	s_mov_b32 s2, 0xb93d
	;; [unrolled: 1-line block ×3, first 2 shown]
	s_movk_i32 s19, 0x3beb
	s_mov_b32 s20, 0xb482
	s_movk_i32 s21, 0x3853
                                        ; implicit-def: $vgpr62
	s_waitcnt vmcnt(20)
	v_lshrrev_b32_e32 v1, 16, v0
	v_mul_f16_sdwa v2, v44, v0 dst_sel:DWORD dst_unused:UNUSED_PAD src0_sel:WORD_1 src1_sel:DWORD
	v_mul_f16_sdwa v3, v44, v1 dst_sel:DWORD dst_unused:UNUSED_PAD src0_sel:WORD_1 src1_sel:DWORD
	v_fma_f16 v1, v44, v1, -v2
	v_fma_f16 v0, v44, v0, v3
	s_waitcnt vmcnt(19)
	v_lshrrev_b32_e32 v2, 16, v5
	s_waitcnt vmcnt(18)
	v_mul_f16_sdwa v16, v42, v5 dst_sel:DWORD dst_unused:UNUSED_PAD src0_sel:WORD_1 src1_sel:DWORD
	v_mul_f16_sdwa v3, v42, v2 dst_sel:DWORD dst_unused:UNUSED_PAD src0_sel:WORD_1 src1_sel:DWORD
	v_fma_f16 v2, v42, v2, -v16
	v_pack_b32_f16 v0, v0, v1
	v_fma_f16 v1, v42, v5, v3
	ds_write_b32 v45, v0
	v_pack_b32_f16 v0, v1, v2
	s_waitcnt vmcnt(17)
	v_lshrrev_b32_e32 v1, 16, v6
	s_waitcnt vmcnt(16)
	v_mul_f16_sdwa v2, v41, v1 dst_sel:DWORD dst_unused:UNUSED_PAD src0_sel:WORD_1 src1_sel:DWORD
	v_mul_f16_sdwa v3, v41, v6 dst_sel:DWORD dst_unused:UNUSED_PAD src0_sel:WORD_1 src1_sel:DWORD
	v_fma_f16 v2, v41, v6, v2
	v_fma_f16 v1, v41, v1, -v3
	v_pack_b32_f16 v1, v2, v1
	ds_write2_b32 v34, v0, v1 offset0:16 offset1:32
	s_waitcnt vmcnt(15)
	v_lshrrev_b32_e32 v0, 16, v7
	s_waitcnt vmcnt(14)
	v_mul_f16_sdwa v1, v40, v0 dst_sel:DWORD dst_unused:UNUSED_PAD src0_sel:WORD_1 src1_sel:DWORD
	v_mul_f16_sdwa v2, v40, v7 dst_sel:DWORD dst_unused:UNUSED_PAD src0_sel:WORD_1 src1_sel:DWORD
	v_fma_f16 v1, v40, v7, v1
	v_fma_f16 v0, v40, v0, -v2
	v_pack_b32_f16 v0, v1, v0
	s_waitcnt vmcnt(13)
	v_lshrrev_b32_e32 v1, 16, v8
	s_waitcnt vmcnt(12)
	v_mul_f16_sdwa v2, v39, v1 dst_sel:DWORD dst_unused:UNUSED_PAD src0_sel:WORD_1 src1_sel:DWORD
	v_mul_f16_sdwa v3, v39, v8 dst_sel:DWORD dst_unused:UNUSED_PAD src0_sel:WORD_1 src1_sel:DWORD
	v_fma_f16 v2, v39, v8, v2
	v_fma_f16 v1, v39, v1, -v3
	v_pack_b32_f16 v1, v2, v1
	ds_write2_b32 v34, v0, v1 offset0:48 offset1:64
	s_waitcnt vmcnt(11)
	v_lshrrev_b32_e32 v0, 16, v9
	s_waitcnt vmcnt(10)
	v_mul_f16_sdwa v1, v38, v0 dst_sel:DWORD dst_unused:UNUSED_PAD src0_sel:WORD_1 src1_sel:DWORD
	v_mul_f16_sdwa v2, v38, v9 dst_sel:DWORD dst_unused:UNUSED_PAD src0_sel:WORD_1 src1_sel:DWORD
	v_fma_f16 v1, v38, v9, v1
	v_fma_f16 v0, v38, v0, -v2
	;; [unrolled: 17-line block ×4, first 2 shown]
	v_pack_b32_f16 v0, v1, v0
	s_waitcnt vmcnt(1)
	v_lshrrev_b32_e32 v1, 16, v4
	s_waitcnt vmcnt(0)
	v_mul_f16_sdwa v2, v32, v1 dst_sel:DWORD dst_unused:UNUSED_PAD src0_sel:WORD_1 src1_sel:DWORD
	v_mul_f16_sdwa v3, v32, v4 dst_sel:DWORD dst_unused:UNUSED_PAD src0_sel:WORD_1 src1_sel:DWORD
	v_fma_f16 v2, v32, v4, v2
	v_fma_f16 v1, v32, v1, -v3
	v_pack_b32_f16 v1, v2, v1
	ds_write2_b32 v34, v0, v1 offset0:144 offset1:160
	s_waitcnt lgkmcnt(0)
	; wave barrier
	s_waitcnt lgkmcnt(0)
	ds_read_b32 v10, v45
	ds_read2_b32 v[0:1], v34 offset0:16 offset1:32
	ds_read2_b32 v[2:3], v34 offset0:48 offset1:64
	;; [unrolled: 1-line block ×5, first 2 shown]
	s_waitcnt lgkmcnt(4)
	v_pk_add_f16 v11, v10, v0
	v_pk_add_f16 v11, v11, v1
	s_waitcnt lgkmcnt(3)
	v_pk_add_f16 v11, v11, v2
	v_pk_add_f16 v11, v11, v3
	;; [unrolled: 3-line block ×5, first 2 shown]
	v_pk_add_f16 v11, v9, v0
	v_pk_add_f16 v0, v0, v9 neg_lo:[0,1] neg_hi:[0,1]
	v_mul_f16_sdwa v9, v0, s7 dst_sel:DWORD dst_unused:UNUSED_PAD src0_sel:WORD_1 src1_sel:DWORD
	v_pk_add_f16 v20, v8, v1
	v_pk_add_f16 v1, v1, v8 neg_lo:[0,1] neg_hi:[0,1]
	v_fma_f16 v12, v11, s0, -v9
	v_mul_f16_sdwa v13, v0, s3 dst_sel:DWORD dst_unused:UNUSED_PAD src0_sel:WORD_1 src1_sel:DWORD
	v_mul_f16_sdwa v18, v1, s3 dst_sel:DWORD dst_unused:UNUSED_PAD src0_sel:WORD_1 src1_sel:DWORD
	v_add_f16_e32 v12, v10, v12
	v_pk_add_f16 v8, v7, v2
	v_pk_add_f16 v2, v2, v7 neg_lo:[0,1] neg_hi:[0,1]
	v_pk_add_f16 v7, v6, v3
	v_pk_add_f16 v3, v3, v6 neg_lo:[0,1] neg_hi:[0,1]
	v_fma_f16 v6, v11, s1, -v13
	v_fma_f16 v16, v20, s1, -v18
	v_mul_f16_sdwa v19, v1, s17 dst_sel:DWORD dst_unused:UNUSED_PAD src0_sel:WORD_1 src1_sel:DWORD
	v_add_f16_e32 v6, v10, v6
	v_add_f16_e32 v12, v16, v12
	v_fma_f16 v16, v20, s2, -v19
	v_mul_f16_sdwa v21, v2, s16 dst_sel:DWORD dst_unused:UNUSED_PAD src0_sel:WORD_1 src1_sel:DWORD
	v_add_f16_e32 v6, v16, v6
	v_fma_f16 v16, v8, s6, -v21
	s_mov_b32 s3, 0xbbad
	v_mul_f16_sdwa v22, v2, s18 dst_sel:DWORD dst_unused:UNUSED_PAD src0_sel:WORD_1 src1_sel:DWORD
	v_add_f16_e32 v12, v16, v12
	v_fma_f16 v16, v8, s3, -v22
	v_mul_f16_sdwa v23, v3, s17 dst_sel:DWORD dst_unused:UNUSED_PAD src0_sel:WORD_1 src1_sel:DWORD
	v_add_f16_e32 v6, v16, v6
	v_fma_f16 v16, v7, s2, -v23
	v_mul_f16_sdwa v24, v3, s19 dst_sel:DWORD dst_unused:UNUSED_PAD src0_sel:WORD_1 src1_sel:DWORD
	v_pk_add_f16 v26, v5, v4
	v_pk_add_f16 v4, v4, v5 neg_lo:[0,1] neg_hi:[0,1]
	v_add_f16_e32 v12, v16, v12
	v_fma_f16 v16, v7, s6, -v24
	v_mul_f16_sdwa v5, v4, s20 dst_sel:DWORD dst_unused:UNUSED_PAD src0_sel:WORD_1 src1_sel:DWORD
	v_add_f16_e32 v6, v16, v6
	v_fma_f16 v16, v26, s3, -v5
	v_add_f16_e32 v16, v16, v12
	v_mul_f16_sdwa v12, v4, s21 dst_sel:DWORD dst_unused:UNUSED_PAD src0_sel:WORD_1 src1_sel:DWORD
	v_fma_f16 v17, v26, s0, -v12
	v_add_f16_e32 v17, v17, v6
	v_fma_f16 v6, v11, s0, v9
	v_add_f16_e32 v6, v10, v6
	v_fma_f16 v9, v20, s1, v18
	;; [unrolled: 2-line block ×8, first 2 shown]
	v_fma_f16 v5, v26, s3, v5
	v_add_f16_e32 v9, v13, v9
	v_add_f16_e32 v19, v5, v6
	v_fma_f16 v5, v26, s0, v12
	v_add_f16_e32 v18, v5, v9
	v_mul_f16_sdwa v5, v0, s16 dst_sel:DWORD dst_unused:UNUSED_PAD src0_sel:WORD_1 src1_sel:DWORD
	v_fma_f16 v6, v11, s6, -v5
	v_mul_f16_sdwa v9, v1, s18 dst_sel:DWORD dst_unused:UNUSED_PAD src0_sel:WORD_1 src1_sel:DWORD
	v_add_f16_e32 v6, v10, v6
	v_fma_f16 v12, v20, s3, -v9
	v_add_f16_e32 v6, v12, v6
	v_mul_f16_sdwa v12, v0, s17 dst_sel:DWORD dst_unused:UNUSED_PAD src0_sel:WORD_1 src1_sel:DWORD
	v_fma_f16 v5, v11, s6, v5
	v_fma_f16 v13, v11, s2, -v12
	v_mul_f16_sdwa v21, v1, s19 dst_sel:DWORD dst_unused:UNUSED_PAD src0_sel:WORD_1 src1_sel:DWORD
	s_movk_i32 s18, 0x3b47
	v_add_f16_e32 v5, v10, v5
	v_fma_f16 v9, v20, s3, v9
	v_add_f16_e32 v13, v10, v13
	v_fma_f16 v22, v20, s6, -v21
	v_mul_f16_sdwa v24, v2, s18 dst_sel:DWORD dst_unused:UNUSED_PAD src0_sel:WORD_1 src1_sel:DWORD
	v_add_f16_e32 v5, v9, v5
	v_fma_f16 v9, v11, s2, v12
	v_add_f16_e32 v13, v22, v13
	v_fma_f16 v22, v8, s1, -v24
	v_mul_f16_sdwa v25, v2, s7 dst_sel:DWORD dst_unused:UNUSED_PAD src0_sel:WORD_1 src1_sel:DWORD
	;; [unrolled: 5-line block ×5, first 2 shown]
	v_add_f16_e32 v9, v12, v9
	v_fma_f16 v12, v7, s0, v27
	v_add_f16_e32 v13, v22, v13
	v_fma_f16 v22, v26, s2, -v29
	v_add_f16_e32 v5, v12, v5
	v_fma_f16 v12, v7, s3, v28
	v_add_f16_e32 v22, v22, v6
	v_mul_f16_sdwa v6, v4, s18 dst_sel:DWORD dst_unused:UNUSED_PAD src0_sel:WORD_1 src1_sel:DWORD
	v_add_f16_e32 v9, v12, v9
	v_fma_f16 v12, v26, s2, v29
	v_add_f16_e32 v25, v12, v5
	v_fma_f16 v5, v26, s1, v6
	v_fma_f16 v23, v26, s1, -v6
	v_add_f16_e32 v24, v5, v9
	v_lshrrev_b32_e32 v5, 16, v11
	v_mul_f16_e32 v6, 0xbb47, v0
	v_add_f16_e32 v23, v23, v13
	v_fma_f16 v9, v5, s1, v6
	v_lshrrev_b32_e32 v12, 16, v20
	v_mul_f16_e32 v13, 0xba0c, v1
	v_add_f16_sdwa v9, v10, v9 dst_sel:DWORD dst_unused:UNUSED_PAD src0_sel:WORD_1 src1_sel:DWORD
	v_fma_f16 v21, v12, s2, v13
	v_add_f16_e32 v9, v21, v9
	v_mul_f16_e32 v21, 0xbbeb, v0
	v_fma_f16 v27, v5, s6, v21
	v_mul_f16_e32 v28, 0x3482, v1
	v_add_f16_sdwa v27, v10, v27 dst_sel:DWORD dst_unused:UNUSED_PAD src0_sel:WORD_1 src1_sel:DWORD
	v_fma_f16 v29, v12, s3, v28
	v_add_f16_e32 v27, v29, v27
	v_lshrrev_b32_e32 v29, 16, v8
	v_mul_f16_e32 v30, 0x3482, v2
	v_fma_f16 v31, v29, s3, v30
	v_add_f16_e32 v9, v31, v9
	v_mul_f16_e32 v31, 0x3b47, v2
	v_fma_f16 v47, v29, s1, v31
	v_lshrrev_b32_e32 v55, 16, v7
	v_mul_f16_e32 v53, 0x3beb, v3
	v_add_f16_e32 v27, v47, v27
	v_fma_f16 v47, v55, s6, v53
	v_mul_f16_e32 v51, 0xb853, v3
	v_add_f16_e32 v9, v47, v9
	v_fma_f16 v47, v55, s0, v51
	v_lshrrev_b32_e32 v56, 16, v26
	v_mul_f16_e32 v57, 0x3853, v4
	v_add_f16_e32 v27, v47, v27
	v_fma_f16 v47, v56, s0, v57
	v_add_f16_e32 v49, v47, v9
	v_mul_f16_e32 v9, 0xba0c, v4
	v_fma_f16 v47, v56, s2, v9
	v_add_f16_e32 v50, v47, v27
	v_mul_u32_u24_e32 v27, 11, v43
	v_add_lshl_u32 v47, v14, v27, 2
	v_pack_b32_f16 v14, v22, v50
	v_pack_b32_f16 v27, v17, v49
	s_waitcnt lgkmcnt(0)
	; wave barrier
	ds_write2_b32 v47, v27, v14 offset0:2 offset1:3
	v_pk_mul_f16 v14, v0, s20 op_sel_hi:[1,0]
	v_pk_fma_f16 v27, v11, s3, v14 op_sel:[0,0,1] op_sel_hi:[1,0,0] neg_lo:[0,0,1] neg_hi:[0,0,1]
	v_pk_mul_f16 v52, v1, s21 op_sel_hi:[1,0]
	v_pk_add_f16 v27, v10, v27
	v_pk_fma_f16 v54, v20, s0, v52 op_sel:[0,0,1] op_sel_hi:[1,0,0] neg_lo:[0,0,1] neg_hi:[0,0,1]
	v_pk_add_f16 v27, v54, v27
	v_pk_mul_f16 v54, v2, s17 op_sel_hi:[1,0]
	v_pk_fma_f16 v11, v11, s3, v14 op_sel:[0,0,1] op_sel_hi:[1,0,0]
	v_pk_fma_f16 v58, v8, s2, v54 op_sel:[0,0,1] op_sel_hi:[1,0,0] neg_lo:[0,0,1] neg_hi:[0,0,1]
	v_pk_fma_f16 v14, v20, s0, v52 op_sel:[0,0,1] op_sel_hi:[1,0,0]
	v_pk_add_f16 v11, v10, v11
	v_pk_add_f16 v27, v58, v27
	v_pk_mul_f16 v58, v3, s18 op_sel_hi:[1,0]
	v_pk_add_f16 v11, v14, v11
	v_pk_fma_f16 v8, v8, s2, v54 op_sel:[0,0,1] op_sel_hi:[1,0,0]
	v_pk_fma_f16 v59, v7, s1, v58 op_sel:[0,0,1] op_sel_hi:[1,0,0] neg_lo:[0,0,1] neg_hi:[0,0,1]
	v_pk_add_f16 v8, v8, v11
	v_pk_fma_f16 v7, v7, s1, v58 op_sel:[0,0,1] op_sel_hi:[1,0,0]
	v_pk_add_f16 v7, v7, v8
	v_pk_mul_f16 v8, v4, s16 op_sel_hi:[1,0]
	v_pk_add_f16 v27, v59, v27
	v_pk_fma_f16 v11, v26, s6, v8 op_sel:[0,0,1] op_sel_hi:[1,0,0] neg_lo:[0,0,1] neg_hi:[0,0,1]
	v_pk_fma_f16 v8, v26, s6, v8 op_sel:[0,0,1] op_sel_hi:[1,0,0]
	v_pk_add_f16 v26, v11, v27
	v_pk_add_f16 v27, v8, v7
	s_mov_b32 s7, 0xffff
	v_bfi_b32 v7, s7, v27, v26
	v_bfi_b32 v8, s7, v26, v27
	ds_write2_b32 v47, v8, v7 offset0:5 offset1:6
	v_fma_f16 v7, v5, s6, -v21
	v_add_f16_sdwa v7, v10, v7 dst_sel:DWORD dst_unused:UNUSED_PAD src0_sel:WORD_1 src1_sel:DWORD
	v_fma_f16 v8, v12, s3, -v28
	v_add_f16_e32 v7, v8, v7
	v_mul_f16_e32 v8, 0xba0c, v0
	v_fma_f16 v11, v5, s2, -v8
	v_mul_f16_e32 v14, 0x3beb, v1
	v_add_f16_sdwa v11, v10, v11 dst_sel:DWORD dst_unused:UNUSED_PAD src0_sel:WORD_1 src1_sel:DWORD
	v_fma_f16 v20, v12, s6, -v14
	v_add_f16_e32 v11, v20, v11
	v_fma_f16 v20, v29, s1, -v31
	v_mul_f16_e32 v28, 0xb853, v2
	v_add_f16_e32 v7, v20, v7
	v_fma_f16 v20, v29, s0, -v28
	v_add_f16_e32 v11, v20, v11
	v_fma_f16 v20, v55, s0, -v51
	v_add_f16_e32 v7, v20, v7
	v_mul_f16_e32 v31, 0xb482, v3
	v_fma_f16 v9, v56, s2, -v9
	v_fma_f16 v20, v55, s3, -v31
	v_add_f16_e32 v51, v9, v7
	v_mul_f16_e32 v7, 0x3b47, v4
	v_add_f16_e32 v11, v20, v11
	v_fma_f16 v9, v56, s1, -v7
	v_add_f16_e32 v52, v9, v11
	v_pack_b32_f16 v9, v25, v51
	v_pack_b32_f16 v11, v24, v52
	v_mul_f16_e32 v0, 0xb853, v0
	ds_write2_b32 v47, v11, v9 offset0:7 offset1:8
	v_fma_f16 v9, v5, s0, -v0
	v_mul_f16_e32 v1, 0xbb47, v1
	v_add_f16_sdwa v9, v10, v9 dst_sel:DWORD dst_unused:UNUSED_PAD src0_sel:WORD_1 src1_sel:DWORD
	v_fma_f16 v11, v12, s1, -v1
	v_fma_f16 v6, v5, s1, -v6
	v_add_f16_e32 v9, v11, v9
	v_add_f16_sdwa v6, v10, v6 dst_sel:DWORD dst_unused:UNUSED_PAD src0_sel:WORD_1 src1_sel:DWORD
	v_fma_f16 v11, v12, s2, -v13
	v_mul_f16_e32 v2, 0xbbeb, v2
	v_add_f16_e32 v6, v11, v6
	v_fma_f16 v11, v29, s6, -v2
	v_fma_f16 v0, v5, s0, v0
	v_add_f16_e32 v9, v11, v9
	v_fma_f16 v11, v29, s3, -v30
	v_mul_f16_e32 v3, 0xba0c, v3
	v_fma_f16 v5, v5, s2, v8
	v_add_f16_sdwa v0, v10, v0 dst_sel:DWORD dst_unused:UNUSED_PAD src0_sel:WORD_1 src1_sel:DWORD
	v_fma_f16 v1, v12, s1, v1
	v_add_f16_e32 v6, v11, v6
	v_fma_f16 v11, v55, s2, -v3
	v_add_f16_sdwa v5, v10, v5 dst_sel:DWORD dst_unused:UNUSED_PAD src0_sel:WORD_1 src1_sel:DWORD
	v_add_f16_e32 v0, v1, v0
	v_fma_f16 v1, v12, s6, v14
	v_fma_f16 v2, v29, s6, v2
	v_add_f16_e32 v9, v11, v9
	v_fma_f16 v11, v55, s6, -v53
	v_mul_f16_e32 v4, 0xb482, v4
	v_add_f16_e32 v1, v1, v5
	v_add_f16_e32 v0, v2, v0
	v_fma_f16 v2, v29, s0, v28
	v_add_f16_e32 v6, v11, v6
	v_fma_f16 v11, v56, s3, -v4
	v_add_f16_e32 v1, v2, v1
	v_fma_f16 v2, v55, s2, v3
	v_add_f16_e32 v54, v11, v9
	v_fma_f16 v9, v56, s0, -v57
	v_add_f16_e32 v0, v2, v0
	v_fma_f16 v2, v55, s3, v31
	v_add_f16_e32 v53, v9, v6
	v_add_f16_e32 v1, v2, v1
	v_fma_f16 v2, v56, s3, v4
	s_load_dwordx2 s[2:3], s[4:5], 0x38
	v_pack_b32_f16 v6, v19, v54
	v_pack_b32_f16 v9, v18, v53
	ds_write2_b32 v47, v9, v6 offset0:9 offset1:10
	v_mov_b32_e32 v6, s13
	v_add_co_u32_e32 v20, vcc, s12, v46
	v_add_f16_e32 v60, v2, v0
	v_fma_f16 v0, v56, s1, v7
	v_addc_co_u32_e32 v21, vcc, 0, v6, vcc
	v_add_f16_e32 v61, v0, v1
	v_pack_b32_f16 v0, v16, v60
	ds_write2_b32 v47, v48, v0 offset1:1
	v_pack_b32_f16 v0, v23, v61
	v_cmp_gt_u32_e32 vcc, 11, v43
	v_lshrrev_b32_e32 v63, 16, v26
	v_lshrrev_b32_e32 v64, 16, v27
	ds_write_b32 v47, v0 offset:16
	s_waitcnt lgkmcnt(0)
	; wave barrier
	s_waitcnt lgkmcnt(0)
                                        ; implicit-def: $vgpr55
                                        ; implicit-def: $vgpr56
                                        ; implicit-def: $vgpr57
                                        ; implicit-def: $vgpr58
                                        ; implicit-def: $vgpr59
                                        ; implicit-def: $vgpr29
                                        ; implicit-def: $vgpr31
	s_and_saveexec_b64 s[0:1], vcc
	s_cbranch_execz .LBB0_3
; %bb.2:
	ds_read2_b32 v[16:17], v34 offset0:11 offset1:22
	ds_read2_b32 v[22:23], v34 offset0:33 offset1:44
	;; [unrolled: 1-line block ×7, first 2 shown]
	ds_read_b32 v48, v45
	ds_read_b32 v55, v34 offset:660
	s_waitcnt lgkmcnt(0)
	v_lshrrev_b32_e32 v60, 16, v16
	v_lshrrev_b32_e32 v49, 16, v17
	;; [unrolled: 1-line block ×15, first 2 shown]
.LBB0_3:
	s_or_b64 exec, exec, s[0:1]
	v_add_u32_e32 v0, -11, v43
	v_cndmask_b32_e32 v0, v0, v43, vcc
	v_mul_hi_i32_i24_e32 v1, 60, v0
	v_mul_i32_i24_e32 v0, 60, v0
	v_mov_b32_e32 v2, s15
	v_add_co_u32_e64 v65, s[0:1], s14, v0
	v_addc_co_u32_e64 v66, s[0:1], v2, v1, s[0:1]
	global_load_dwordx4 v[0:3], v[65:66], off
	global_load_dwordx4 v[8:11], v[65:66], off offset:16
	global_load_dwordx4 v[4:7], v[65:66], off offset:32
	global_load_dwordx3 v[12:14], v[65:66], off offset:48
	v_lshrrev_b32_e32 v65, 16, v48
	s_mov_b32 s4, 0xb9a8
	s_movk_i32 s5, 0x39a8
	s_mov_b32 s6, 0xb61f
	s_movk_i32 s0, 0x3b64
	s_movk_i32 s14, 0x361f
	s_mov_b32 s7, 0xbb64
	s_waitcnt vmcnt(3)
	v_mul_f16_sdwa v66, v60, v0 dst_sel:DWORD dst_unused:UNUSED_PAD src0_sel:DWORD src1_sel:WORD_1
	v_mul_f16_sdwa v67, v16, v0 dst_sel:DWORD dst_unused:UNUSED_PAD src0_sel:DWORD src1_sel:WORD_1
	;; [unrolled: 1-line block ×7, first 2 shown]
	s_waitcnt vmcnt(2)
	v_mul_f16_sdwa v75, v26, v8 dst_sel:DWORD dst_unused:UNUSED_PAD src0_sel:DWORD src1_sel:WORD_1
	v_fma_f16 v16, v16, v0, -v66
	v_mul_f16_sdwa v66, v52, v10 dst_sel:DWORD dst_unused:UNUSED_PAD src0_sel:DWORD src1_sel:WORD_1
	v_fma_f16 v22, v22, v2, -v70
	v_mul_f16_sdwa v70, v51, v11 dst_sel:DWORD dst_unused:UNUSED_PAD src0_sel:DWORD src1_sel:WORD_1
	v_fma_f16 v60, v60, v0, v67
	s_waitcnt vmcnt(1)
	v_mul_f16_sdwa v67, v59, v7 dst_sel:DWORD dst_unused:UNUSED_PAD src0_sel:DWORD src1_sel:WORD_1
	v_mul_f16_sdwa v73, v23, v3 dst_sel:DWORD dst_unused:UNUSED_PAD src0_sel:DWORD src1_sel:WORD_1
	;; [unrolled: 1-line block ×5, first 2 shown]
	v_fma_f16 v17, v17, v1, -v68
	v_mul_f16_sdwa v68, v24, v10 dst_sel:DWORD dst_unused:UNUSED_PAD src0_sel:DWORD src1_sel:WORD_1
	v_fma_f16 v23, v23, v3, -v72
	v_mul_f16_sdwa v72, v25, v11 dst_sel:DWORD dst_unused:UNUSED_PAD src0_sel:DWORD src1_sel:WORD_1
	v_fma_f16 v24, v24, v10, -v66
	v_fma_f16 v25, v25, v11, -v70
	v_mul_f16_sdwa v66, v54, v5 dst_sel:DWORD dst_unused:UNUSED_PAD src0_sel:DWORD src1_sel:WORD_1
	v_fma_f16 v49, v49, v1, v69
	v_mul_f16_sdwa v69, v31, v7 dst_sel:DWORD dst_unused:UNUSED_PAD src0_sel:DWORD src1_sel:WORD_1
	v_fma_f16 v64, v64, v8, v75
	s_waitcnt vmcnt(0)
	v_mul_f16_sdwa v75, v57, v13 dst_sel:DWORD dst_unused:UNUSED_PAD src0_sel:DWORD src1_sel:WORD_1
	v_fma_f16 v31, v31, v7, -v67
	v_fma_f16 v26, v26, v8, -v74
	;; [unrolled: 1-line block ×3, first 2 shown]
	v_mul_f16_sdwa v74, v53, v4 dst_sel:DWORD dst_unused:UNUSED_PAD src0_sel:DWORD src1_sel:WORD_1
	v_mul_f16_sdwa v70, v19, v5 dst_sel:DWORD dst_unused:UNUSED_PAD src0_sel:DWORD src1_sel:WORD_1
	v_fma_f16 v19, v19, v5, -v66
	v_mul_f16_sdwa v66, v62, v6 dst_sel:DWORD dst_unused:UNUSED_PAD src0_sel:DWORD src1_sel:WORD_1
	v_fma_f16 v50, v50, v2, v71
	v_mul_f16_sdwa v71, v58, v12 dst_sel:DWORD dst_unused:UNUSED_PAD src0_sel:DWORD src1_sel:WORD_1
	v_fma_f16 v61, v61, v3, v73
	v_fma_f16 v63, v63, v9, v77
	v_mul_f16_sdwa v77, v29, v13 dst_sel:DWORD dst_unused:UNUSED_PAD src0_sel:DWORD src1_sel:WORD_1
	v_fma_f16 v52, v52, v10, v68
	v_mul_f16_sdwa v68, v56, v14 dst_sel:DWORD dst_unused:UNUSED_PAD src0_sel:DWORD src1_sel:WORD_1
	v_fma_f16 v51, v51, v11, v72
	v_fma_f16 v59, v59, v7, v69
	v_fma_f16 v29, v29, v13, -v75
	v_sub_f16_e32 v25, v48, v25
	v_sub_f16_e32 v31, v23, v31
	v_mul_f16_sdwa v76, v18, v4 dst_sel:DWORD dst_unused:UNUSED_PAD src0_sel:DWORD src1_sel:WORD_1
	v_fma_f16 v18, v18, v4, -v74
	v_mul_f16_sdwa v74, v30, v6 dst_sel:DWORD dst_unused:UNUSED_PAD src0_sel:DWORD src1_sel:WORD_1
	v_mul_f16_sdwa v73, v28, v12 dst_sel:DWORD dst_unused:UNUSED_PAD src0_sel:DWORD src1_sel:WORD_1
	;; [unrolled: 1-line block ×3, first 2 shown]
	v_fma_f16 v54, v54, v5, v70
	v_fma_f16 v30, v30, v6, -v66
	v_fma_f16 v28, v28, v12, -v71
	v_fma_f16 v57, v57, v13, v77
	v_fma_f16 v55, v55, v14, -v68
	v_sub_f16_e32 v51, v65, v51
	v_sub_f16_e32 v59, v61, v59
	;; [unrolled: 1-line block ×4, first 2 shown]
	v_fma_f16 v48, v48, 2.0, -v25
	v_fma_f16 v23, v23, 2.0, -v31
	v_fma_f16 v53, v53, v4, v76
	v_fma_f16 v58, v58, v12, v73
	v_sub_f16_e32 v54, v49, v54
	v_sub_f16_e32 v57, v63, v57
	v_fma_f16 v65, v65, 2.0, -v51
	v_fma_f16 v61, v61, 2.0, -v59
	;; [unrolled: 1-line block ×4, first 2 shown]
	v_sub_f16_e32 v18, v16, v18
	v_sub_f16_e32 v68, v26, v28
	v_sub_f16_e32 v55, v24, v55
	v_sub_f16_e32 v29, v48, v23
	v_add_f16_e32 v31, v51, v31
	v_fma_f16 v62, v62, v6, v74
	v_fma_f16 v56, v56, v14, v72
	v_fma_f16 v49, v49, 2.0, -v54
	v_fma_f16 v63, v63, 2.0, -v57
	v_sub_f16_e32 v53, v60, v53
	v_fma_f16 v16, v16, 2.0, -v18
	v_sub_f16_e32 v58, v64, v58
	;; [unrolled: 2-line block ×6, first 2 shown]
	v_sub_f16_e32 v61, v19, v57
	v_fma_f16 v60, v60, 2.0, -v53
	v_fma_f16 v64, v64, 2.0, -v58
	v_sub_f16_e32 v62, v50, v62
	v_fma_f16 v69, v22, 2.0, -v30
	v_sub_f16_e32 v70, v52, v56
	v_fma_f16 v22, v65, 2.0, -v26
	v_fma_f16 v27, v25, 2.0, -v48
	v_sub_f16_e32 v59, v49, v63
	v_fma_f16 v17, v17, 2.0, -v51
	v_add_f16_e32 v65, v54, v66
	v_fma_f16 v19, v19, 2.0, -v61
	v_sub_f16_e32 v57, v16, v28
	v_fma_f16 v50, v50, 2.0, -v62
	v_fma_f16 v52, v52, 2.0, -v70
	;; [unrolled: 1-line block ×4, first 2 shown]
	v_sub_f16_e32 v56, v60, v64
	v_fma_f16 v28, v16, 2.0, -v57
	v_sub_f16_e32 v16, v18, v58
	v_sub_f16_e32 v73, v30, v70
	v_add_f16_e32 v74, v62, v55
	v_sub_f16_e32 v55, v23, v17
	v_fma_f16 v17, v19, s4, v27
	v_fma_f16 v25, v60, 2.0, -v56
	v_add_f16_e32 v72, v53, v68
	v_fma_f16 v54, v18, 2.0, -v16
	v_sub_f16_e32 v18, v69, v71
	v_sub_f16_e32 v68, v50, v52
	v_fma_f16 v30, v30, 2.0, -v73
	v_sub_f16_e32 v52, v22, v49
	v_fma_f16 v49, v63, s4, v24
	v_fma_f16 v60, v63, s4, v17
	;; [unrolled: 1-line block ×3, first 2 shown]
	v_fma_f16 v53, v53, 2.0, -v72
	v_fma_f16 v64, v69, 2.0, -v18
	v_fma_f16 v69, v62, 2.0, -v74
	v_fma_f16 v58, v19, s5, v49
	v_fma_f16 v19, v65, s5, v31
	;; [unrolled: 1-line block ×4, first 2 shown]
	v_fma_f16 v50, v50, 2.0, -v68
	v_fma_f16 v71, v61, s5, v19
	v_fma_f16 v19, v69, s4, v53
	;; [unrolled: 1-line block ×3, first 2 shown]
	v_sub_f16_e32 v69, v57, v68
	v_add_f16_e32 v68, v56, v18
	v_fma_f16 v17, v73, s5, v16
	v_fma_f16 v18, v74, s5, v72
	v_sub_f16_e32 v63, v29, v59
	v_sub_f16_e32 v59, v25, v50
	v_fma_f16 v50, v74, s4, v17
	v_fma_f16 v49, v73, s5, v18
	v_fma_f16 v67, v31, 2.0, -v71
	v_fma_f16 v17, v16, 2.0, -v50
	;; [unrolled: 1-line block ×4, first 2 shown]
	v_sub_f16_e32 v61, v28, v64
	v_fma_f16 v64, v30, s5, v19
	v_fma_f16 v19, v16, s6, v67
	v_add_f16_e32 v62, v26, v51
	v_fma_f16 v18, v17, s6, v66
	v_fma_f16 v31, v17, s0, v19
	;; [unrolled: 1-line block ×10, first 2 shown]
	v_sub_f16_e32 v17, v55, v59
	v_add_f16_e32 v30, v52, v61
	v_fma_f16 v18, v64, s7, v18
	v_fma_f16 v19, v68, s4, v19
	;; [unrolled: 1-line block ×5, first 2 shown]
	s_and_saveexec_b64 s[0:1], vcc
	s_cbranch_execz .LBB0_5
; %bb.4:
	v_fma_f16 v29, v29, 2.0, -v63
	v_fma_f16 v57, v57, 2.0, -v69
	;; [unrolled: 1-line block ×3, first 2 shown]
	v_fma_f16 v63, v57, s4, v29
	v_fma_f16 v56, v56, 2.0, -v68
	v_fma_f16 v26, v26, 2.0, -v62
	v_fma_f16 v63, v56, s4, v63
	v_fma_f16 v56, v56, s4, v26
	v_fma_f16 v27, v27, 2.0, -v60
	v_fma_f16 v54, v54, 2.0, -v65
	v_fma_f16 v56, v57, s5, v56
	v_fma_f16 v57, v54, s7, v27
	v_fma_f16 v53, v53, 2.0, -v64
	v_fma_f16 v24, v24, 2.0, -v58
	;; [unrolled: 1-line block ×6, first 2 shown]
	v_fma_f16 v57, v53, s6, v57
	v_fma_f16 v53, v53, s7, v24
	v_sub_f16_e32 v28, v23, v28
	v_sub_f16_e32 v25, v22, v25
	v_fma_f16 v53, v54, s14, v53
	v_fma_f16 v23, v23, 2.0, -v28
	v_fma_f16 v22, v22, 2.0, -v25
	;; [unrolled: 1-line block ×6, first 2 shown]
	v_pack_b32_f16 v22, v23, v22
	v_fma_f16 v76, v55, 2.0, -v17
	v_fma_f16 v77, v52, 2.0, -v30
	;; [unrolled: 1-line block ×4, first 2 shown]
	ds_write_b32 v45, v22
	v_pack_b32_f16 v22, v27, v24
	v_pack_b32_f16 v23, v29, v26
	v_fma_f16 v73, v62, 2.0, -v51
	v_fma_f16 v74, v60, 2.0, -v18
	;; [unrolled: 1-line block ×3, first 2 shown]
	ds_write2_b32 v34, v22, v23 offset0:11 offset1:22
	v_pack_b32_f16 v22, v66, v67
	v_pack_b32_f16 v23, v76, v77
	v_fma_f16 v70, v70, 2.0, -v49
	v_fma_f16 v71, v71, 2.0, -v50
	ds_write2_b32 v34, v22, v23 offset0:33 offset1:44
	v_pack_b32_f16 v22, v74, v75
	v_pack_b32_f16 v23, v72, v73
	ds_write2_b32 v34, v22, v23 offset0:55 offset1:66
	v_pack_b32_f16 v22, v70, v71
	v_pack_b32_f16 v23, v28, v25
	;; [unrolled: 3-line block ×3, first 2 shown]
	s_mov_b32 s4, 0x5040100
	ds_write2_b32 v34, v22, v23 offset0:99 offset1:110
	v_perm_b32 v22, v31, v16, s4
	v_perm_b32 v23, v30, v17, s4
	ds_write2_b32 v34, v22, v23 offset0:121 offset1:132
	v_perm_b32 v22, v48, v18, s4
	v_perm_b32 v23, v51, v19, s4
	ds_write2_b32 v34, v22, v23 offset0:143 offset1:154
	v_perm_b32 v22, v50, v49, s4
	ds_write_b32 v34, v22 offset:660
.LBB0_5:
	s_or_b64 exec, exec, s[0:1]
	s_waitcnt lgkmcnt(0)
	; wave barrier
	s_waitcnt lgkmcnt(0)
	global_load_dword v20, v[20:21], off offset:704
	s_add_u32 s0, s12, 0x2c0
	s_addc_u32 s1, s13, 0
	global_load_dword v52, v46, s[0:1] offset:64
	global_load_dword v53, v46, s[0:1] offset:128
	;; [unrolled: 1-line block ×10, first 2 shown]
	ds_read_b32 v21, v45
	s_mov_b32 s12, 0xb853
	s_movk_i32 s6, 0x3abb
	s_mov_b32 s13, 0xbb47
	s_mov_b32 s0, 0xffff
	s_waitcnt lgkmcnt(0)
	v_lshrrev_b32_e32 v22, 16, v21
	s_movk_i32 s4, 0x36a6
	s_mov_b32 s15, 0xba0c
	s_mov_b32 s16, 0xb93d
	s_movk_i32 s5, 0x3b47
	s_mov_b32 s1, 0xbbeb
	s_mov_b32 s7, 0xb08e
	s_movk_i32 s18, 0x3482
	s_movk_i32 s17, 0x3a0c
	s_mov_b32 s19, 0xbbad
	s_movk_i32 s14, 0x3beb
	s_waitcnt vmcnt(10)
	v_mul_f16_sdwa v23, v22, v20 dst_sel:DWORD dst_unused:UNUSED_PAD src0_sel:DWORD src1_sel:WORD_1
	v_mul_f16_sdwa v24, v21, v20 dst_sel:DWORD dst_unused:UNUSED_PAD src0_sel:DWORD src1_sel:WORD_1
	v_fma_f16 v21, v21, v20, -v23
	v_fma_f16 v20, v22, v20, v24
	v_pack_b32_f16 v20, v21, v20
	ds_write_b32 v45, v20
	ds_read2_b32 v[20:21], v34 offset0:16 offset1:32
	ds_read2_b32 v[22:23], v34 offset0:48 offset1:64
	;; [unrolled: 1-line block ×5, first 2 shown]
	s_waitcnt lgkmcnt(4)
	v_lshrrev_b32_e32 v46, 16, v20
	s_waitcnt vmcnt(9)
	v_mul_f16_sdwa v62, v20, v52 dst_sel:DWORD dst_unused:UNUSED_PAD src0_sel:DWORD src1_sel:WORD_1
	v_lshrrev_b32_e32 v63, 16, v21
	s_waitcnt vmcnt(8)
	v_mul_f16_sdwa v64, v21, v53 dst_sel:DWORD dst_unused:UNUSED_PAD src0_sel:DWORD src1_sel:WORD_1
	s_waitcnt lgkmcnt(3)
	v_lshrrev_b32_e32 v65, 16, v22
	s_waitcnt vmcnt(7)
	v_mul_f16_sdwa v66, v22, v54 dst_sel:DWORD dst_unused:UNUSED_PAD src0_sel:DWORD src1_sel:WORD_1
	v_lshrrev_b32_e32 v67, 16, v23
	s_waitcnt vmcnt(6)
	v_mul_f16_sdwa v68, v23, v55 dst_sel:DWORD dst_unused:UNUSED_PAD src0_sel:DWORD src1_sel:WORD_1
	;; [unrolled: 7-line block ×5, first 2 shown]
	v_mul_f16_sdwa v81, v46, v52 dst_sel:DWORD dst_unused:UNUSED_PAD src0_sel:DWORD src1_sel:WORD_1
	v_fma_f16 v46, v46, v52, v62
	v_mul_f16_sdwa v62, v63, v53 dst_sel:DWORD dst_unused:UNUSED_PAD src0_sel:DWORD src1_sel:WORD_1
	v_fma_f16 v63, v63, v53, v64
	;; [unrolled: 2-line block ×10, first 2 shown]
	v_fma_f16 v20, v20, v52, -v81
	v_fma_f16 v21, v21, v53, -v62
	;; [unrolled: 1-line block ×10, first 2 shown]
	v_pack_b32_f16 v20, v20, v46
	v_pack_b32_f16 v21, v21, v63
	v_pack_b32_f16 v22, v22, v65
	v_pack_b32_f16 v23, v23, v67
	v_pack_b32_f16 v24, v24, v69
	v_pack_b32_f16 v25, v25, v71
	v_pack_b32_f16 v26, v26, v73
	v_pack_b32_f16 v27, v27, v75
	v_pack_b32_f16 v28, v28, v77
	v_pack_b32_f16 v29, v29, v79
	ds_write2_b32 v34, v20, v21 offset0:16 offset1:32
	ds_write2_b32 v34, v22, v23 offset0:48 offset1:64
	;; [unrolled: 1-line block ×5, first 2 shown]
	s_waitcnt lgkmcnt(0)
	; wave barrier
	s_waitcnt lgkmcnt(0)
	ds_read_b32 v61, v45
	ds_read2_b32 v[20:21], v34 offset0:16 offset1:32
	ds_read2_b32 v[22:23], v34 offset0:48 offset1:64
	ds_read2_b32 v[24:25], v34 offset0:80 offset1:96
	ds_read2_b32 v[26:27], v34 offset0:112 offset1:128
	ds_read2_b32 v[28:29], v34 offset0:144 offset1:160
	s_waitcnt lgkmcnt(4)
	v_pk_add_f16 v46, v61, v20
	v_pk_add_f16 v46, v46, v21
	s_waitcnt lgkmcnt(3)
	v_pk_add_f16 v46, v46, v22
	v_pk_add_f16 v46, v46, v23
	;; [unrolled: 3-line block ×5, first 2 shown]
	v_pk_add_f16 v59, v29, v20
	v_pk_add_f16 v29, v20, v29 neg_lo:[0,1] neg_hi:[0,1]
	v_pk_mul_f16 v20, v29, s12 op_sel_hi:[1,0]
	v_pk_add_f16 v68, v28, v21
	v_pk_add_f16 v28, v21, v28 neg_lo:[0,1] neg_hi:[0,1]
	v_pk_fma_f16 v62, v59, s6, v20 op_sel:[0,0,1] op_sel_hi:[1,0,0]
	v_pk_fma_f16 v63, v59, s6, v20 op_sel:[0,0,1] op_sel_hi:[1,0,0] neg_lo:[0,0,1] neg_hi:[0,0,1]
	v_pk_mul_f16 v21, v28, s13 op_sel_hi:[1,0]
	v_bfi_b32 v20, s0, v62, v63
	v_pk_fma_f16 v69, v68, s4, v21 op_sel:[0,0,1] op_sel_hi:[1,0,0]
	v_pk_fma_f16 v70, v68, s4, v21 op_sel:[0,0,1] op_sel_hi:[1,0,0] neg_lo:[0,0,1] neg_hi:[0,0,1]
	v_pk_add_f16 v20, v61, v20
	v_mul_f16_sdwa v52, v29, s13 dst_sel:DWORD dst_unused:UNUSED_PAD src0_sel:WORD_1 src1_sel:DWORD
	v_bfi_b32 v21, s0, v69, v70
	v_fma_f16 v53, v59, s4, v52
	v_pk_add_f16 v20, v21, v20
	v_mul_f16_sdwa v21, v28, s15 dst_sel:DWORD dst_unused:UNUSED_PAD src0_sel:WORD_1 src1_sel:DWORD
	v_add_f16_e32 v53, v61, v53
	v_mul_f16_sdwa v54, v59, s4 dst_sel:DWORD dst_unused:UNUSED_PAD src0_sel:WORD_1 src1_sel:DWORD
	v_fma_f16 v52, v59, s4, -v52
	v_fma_f16 v71, v68, s16, v21
	v_fma_f16 v55, v29, s5, v54
	v_add_f16_e32 v52, v61, v52
	v_fma_f16 v54, v29, s13, v54
	v_add_f16_e32 v53, v71, v53
	v_mul_f16_sdwa v71, v68, s16 dst_sel:DWORD dst_unused:UNUSED_PAD src0_sel:WORD_1 src1_sel:DWORD
	v_fma_f16 v21, v68, s16, -v21
	v_add_f16_sdwa v54, v61, v54 dst_sel:DWORD dst_unused:UNUSED_PAD src0_sel:WORD_1 src1_sel:DWORD
	v_mul_f16_sdwa v56, v29, s1 dst_sel:DWORD dst_unused:UNUSED_PAD src0_sel:WORD_1 src1_sel:DWORD
	v_add_f16_e32 v21, v21, v52
	v_fma_f16 v52, v28, s15, v71
	v_fma_f16 v57, v59, s7, v56
	v_add_f16_e32 v52, v52, v54
	v_mul_f16_sdwa v54, v28, s18 dst_sel:DWORD dst_unused:UNUSED_PAD src0_sel:WORD_1 src1_sel:DWORD
	v_add_f16_e32 v57, v61, v57
	v_mul_f16_sdwa v58, v59, s7 dst_sel:DWORD dst_unused:UNUSED_PAD src0_sel:WORD_1 src1_sel:DWORD
	v_fma_f16 v56, v59, s7, -v56
	v_fma_f16 v72, v28, s17, v71
	v_fma_f16 v71, v68, s19, v54
	;; [unrolled: 1-line block ×3, first 2 shown]
	v_add_f16_e32 v56, v61, v56
	v_fma_f16 v58, v29, s1, v58
	v_add_f16_e32 v57, v71, v57
	v_mul_f16_sdwa v71, v68, s19 dst_sel:DWORD dst_unused:UNUSED_PAD src0_sel:WORD_1 src1_sel:DWORD
	v_fma_f16 v54, v68, s19, -v54
	v_add_f16_sdwa v58, v61, v58 dst_sel:DWORD dst_unused:UNUSED_PAD src0_sel:WORD_1 src1_sel:DWORD
	v_mul_f16_sdwa v64, v29, s15 dst_sel:DWORD dst_unused:UNUSED_PAD src0_sel:WORD_1 src1_sel:DWORD
	v_add_f16_e32 v54, v54, v56
	v_fma_f16 v56, v28, s18, v71
	v_add_f16_sdwa v55, v61, v55 dst_sel:DWORD dst_unused:UNUSED_PAD src0_sel:WORD_1 src1_sel:DWORD
	v_fma_f16 v65, v59, s16, v64
	v_add_f16_e32 v56, v56, v58
	v_mul_f16_sdwa v58, v28, s14 dst_sel:DWORD dst_unused:UNUSED_PAD src0_sel:WORD_1 src1_sel:DWORD
	v_add_f16_e32 v65, v61, v65
	v_mul_f16_sdwa v66, v59, s16 dst_sel:DWORD dst_unused:UNUSED_PAD src0_sel:WORD_1 src1_sel:DWORD
	v_fma_f16 v64, v59, s16, -v64
	v_add_f16_e32 v55, v72, v55
	v_fma_f16 v72, v28, s20, v71
	v_fma_f16 v71, v68, s7, v58
	;; [unrolled: 1-line block ×3, first 2 shown]
	v_add_f16_e32 v64, v61, v64
	v_fma_f16 v66, v29, s15, v66
	v_add_f16_e32 v65, v71, v65
	v_mul_f16_sdwa v71, v68, s7 dst_sel:DWORD dst_unused:UNUSED_PAD src0_sel:WORD_1 src1_sel:DWORD
	v_fma_f16 v58, v68, s7, -v58
	v_add_f16_sdwa v66, v61, v66 dst_sel:DWORD dst_unused:UNUSED_PAD src0_sel:WORD_1 src1_sel:DWORD
	v_add_f16_e32 v58, v58, v64
	v_fma_f16 v64, v28, s14, v71
	v_add_f16_sdwa v60, v61, v60 dst_sel:DWORD dst_unused:UNUSED_PAD src0_sel:WORD_1 src1_sel:DWORD
	v_add_f16_e32 v64, v64, v66
	v_pk_add_f16 v66, v27, v22
	v_pk_add_f16 v27, v22, v27 neg_lo:[0,1] neg_hi:[0,1]
	v_add_f16_sdwa v67, v61, v67 dst_sel:DWORD dst_unused:UNUSED_PAD src0_sel:WORD_1 src1_sel:DWORD
	v_add_f16_e32 v60, v72, v60
	v_fma_f16 v72, v28, s1, v71
	v_pk_mul_f16 v22, v27, s1 op_sel_hi:[1,0]
	v_add_f16_e32 v67, v72, v67
	v_pk_fma_f16 v71, v66, s7, v22 op_sel:[0,0,1] op_sel_hi:[1,0,0]
	v_pk_fma_f16 v72, v66, s7, v22 op_sel:[0,0,1] op_sel_hi:[1,0,0] neg_lo:[0,0,1] neg_hi:[0,0,1]
	v_bfi_b32 v22, s0, v71, v72
	v_pk_add_f16 v20, v22, v20
	v_mul_f16_sdwa v22, v27, s18 dst_sel:DWORD dst_unused:UNUSED_PAD src0_sel:WORD_1 src1_sel:DWORD
	v_fma_f16 v73, v66, s19, v22
	v_add_f16_e32 v53, v73, v53
	v_mul_f16_sdwa v73, v66, s19 dst_sel:DWORD dst_unused:UNUSED_PAD src0_sel:WORD_1 src1_sel:DWORD
	v_fma_f16 v22, v66, s19, -v22
	v_add_f16_e32 v21, v22, v21
	v_fma_f16 v22, v27, s18, v73
	v_add_f16_e32 v22, v22, v52
	v_mul_f16_sdwa v52, v27, s5 dst_sel:DWORD dst_unused:UNUSED_PAD src0_sel:WORD_1 src1_sel:DWORD
	v_fma_f16 v74, v27, s20, v73
	v_fma_f16 v73, v66, s4, v52
	v_add_f16_e32 v57, v73, v57
	v_mul_f16_sdwa v73, v66, s4 dst_sel:DWORD dst_unused:UNUSED_PAD src0_sel:WORD_1 src1_sel:DWORD
	v_fma_f16 v52, v66, s4, -v52
	v_add_f16_e32 v52, v52, v54
	v_fma_f16 v54, v27, s5, v73
	v_add_f16_e32 v54, v54, v56
	v_mul_f16_sdwa v56, v27, s12 dst_sel:DWORD dst_unused:UNUSED_PAD src0_sel:WORD_1 src1_sel:DWORD
	v_add_f16_e32 v55, v74, v55
	v_fma_f16 v74, v27, s13, v73
	v_fma_f16 v73, v66, s6, v56
	v_add_f16_e32 v65, v73, v65
	v_mul_f16_sdwa v73, v66, s6 dst_sel:DWORD dst_unused:UNUSED_PAD src0_sel:WORD_1 src1_sel:DWORD
	v_fma_f16 v56, v66, s6, -v56
	v_add_f16_e32 v60, v74, v60
	v_fma_f16 v74, v27, s21, v73
	v_add_f16_e32 v56, v56, v58
	v_fma_f16 v58, v27, s12, v73
	v_pk_add_f16 v73, v23, v26 neg_lo:[0,1] neg_hi:[0,1]
	v_add_f16_e32 v58, v58, v64
	v_pk_add_f16 v64, v26, v23
	v_pk_mul_f16 v23, v73, s15 op_sel_hi:[1,0]
	v_add_f16_e32 v67, v74, v67
	v_pk_fma_f16 v74, v64, s16, v23 op_sel:[0,0,1] op_sel_hi:[1,0,0]
	v_pk_fma_f16 v75, v64, s16, v23 op_sel:[0,0,1] op_sel_hi:[1,0,0] neg_lo:[0,0,1] neg_hi:[0,0,1]
	v_bfi_b32 v23, s0, v74, v75
	v_pk_add_f16 v20, v23, v20
	v_mul_f16_sdwa v23, v73, s14 dst_sel:DWORD dst_unused:UNUSED_PAD src0_sel:WORD_1 src1_sel:DWORD
	v_fma_f16 v26, v64, s7, v23
	v_add_f16_e32 v26, v26, v53
	v_mul_f16_sdwa v53, v64, s7 dst_sel:DWORD dst_unused:UNUSED_PAD src0_sel:WORD_1 src1_sel:DWORD
	v_fma_f16 v23, v64, s7, -v23
	v_add_f16_e32 v23, v23, v21
	v_fma_f16 v21, v73, s14, v53
	v_add_f16_e32 v22, v21, v22
	v_mul_f16_sdwa v21, v73, s12 dst_sel:DWORD dst_unused:UNUSED_PAD src0_sel:WORD_1 src1_sel:DWORD
	v_fma_f16 v76, v73, s1, v53
	v_fma_f16 v53, v64, s6, v21
	v_add_f16_e32 v53, v53, v57
	v_mul_f16_sdwa v57, v64, s6 dst_sel:DWORD dst_unused:UNUSED_PAD src0_sel:WORD_1 src1_sel:DWORD
	v_fma_f16 v21, v64, s6, -v21
	v_add_f16_e32 v55, v76, v55
	v_fma_f16 v76, v73, s21, v57
	v_add_f16_e32 v52, v21, v52
	v_fma_f16 v21, v73, s12, v57
	v_add_f16_e32 v60, v76, v60
	v_add_f16_e32 v76, v21, v54
	v_mul_f16_sdwa v21, v73, s20 dst_sel:DWORD dst_unused:UNUSED_PAD src0_sel:WORD_1 src1_sel:DWORD
	v_fma_f16 v54, v64, s19, v21
	v_add_f16_e32 v65, v54, v65
	v_mul_f16_sdwa v54, v64, s19 dst_sel:DWORD dst_unused:UNUSED_PAD src0_sel:WORD_1 src1_sel:DWORD
	v_fma_f16 v21, v64, s19, -v21
	v_add_f16_e32 v56, v21, v56
	v_fma_f16 v21, v73, s20, v54
	v_pk_add_f16 v78, v24, v25 neg_lo:[0,1] neg_hi:[0,1]
	v_add_f16_e32 v58, v21, v58
	v_pk_add_f16 v77, v25, v24
	v_pk_mul_f16 v21, v78, s20 op_sel_hi:[1,0]
	v_pk_fma_f16 v79, v77, s19, v21 op_sel:[0,0,1] op_sel_hi:[1,0,0]
	v_pk_fma_f16 v80, v77, s19, v21 op_sel:[0,0,1] op_sel_hi:[1,0,0] neg_lo:[0,0,1] neg_hi:[0,0,1]
	v_bfi_b32 v21, s0, v79, v80
	v_mul_f16_sdwa v24, v78, s21 dst_sel:DWORD dst_unused:UNUSED_PAD src0_sel:WORD_1 src1_sel:DWORD
	v_pk_add_f16 v20, v21, v20
	v_fma_f16 v21, v77, s6, v24
	v_mul_f16_sdwa v25, v77, s6 dst_sel:DWORD dst_unused:UNUSED_PAD src0_sel:WORD_1 src1_sel:DWORD
	v_fma_f16 v57, v73, s18, v54
	v_add_f16_e32 v21, v21, v26
	v_fma_f16 v26, v78, s12, v25
	v_fma_f16 v24, v77, s6, -v24
	v_add_f16_e32 v67, v57, v67
	v_add_f16_e32 v57, v26, v55
	;; [unrolled: 1-line block ×3, first 2 shown]
	v_fma_f16 v23, v78, s21, v25
	v_add_f16_e32 v54, v23, v22
	v_mul_f16_sdwa v23, v78, s15 dst_sel:DWORD dst_unused:UNUSED_PAD src0_sel:WORD_1 src1_sel:DWORD
	v_mul_f16_sdwa v24, v77, s16 dst_sel:DWORD dst_unused:UNUSED_PAD src0_sel:WORD_1 src1_sel:DWORD
	v_fma_f16 v22, v77, s16, v23
	v_fma_f16 v25, v78, s17, v24
	v_fma_f16 v23, v77, s16, -v23
	v_add_f16_e32 v55, v25, v60
	v_add_f16_e32 v25, v23, v52
	v_fma_f16 v23, v78, s15, v24
	v_mul_f16_sdwa v24, v78, s5 dst_sel:DWORD dst_unused:UNUSED_PAD src0_sel:WORD_1 src1_sel:DWORD
	v_mul_f16_sdwa v60, v77, s4 dst_sel:DWORD dst_unused:UNUSED_PAD src0_sel:WORD_1 src1_sel:DWORD
	v_add_f16_e32 v22, v22, v53
	v_add_f16_e32 v53, v23, v76
	v_fma_f16 v23, v77, s4, v24
	v_fma_f16 v52, v78, s13, v60
	v_fma_f16 v24, v77, s4, -v24
	v_add_f16_e32 v23, v23, v65
	v_add_f16_e32 v52, v52, v67
	;; [unrolled: 1-line block ×3, first 2 shown]
	v_fma_f16 v56, v78, s5, v60
	v_pack_b32_f16 v60, v22, v55
	v_pack_b32_f16 v65, v21, v57
	s_waitcnt lgkmcnt(0)
	; wave barrier
	ds_write2_b32 v47, v65, v60 offset0:2 offset1:3
	v_pack_b32_f16 v60, v23, v52
	v_pk_mul_f16 v59, v59, s19 op_sel_hi:[1,0]
	ds_write_b32 v47, v60 offset:16
	v_pk_fma_f16 v60, v29, s20, v59 op_sel:[0,0,1] op_sel_hi:[1,0,0]
	v_pk_fma_f16 v29, v29, s20, v59 op_sel:[0,0,1] op_sel_hi:[1,0,0] neg_lo:[1,0,0] neg_hi:[1,0,0]
	v_alignbit_b32 v59, s0, v61, 16
	v_alignbit_b32 v65, s0, v60, 16
	v_pk_add_f16 v59, v59, v60
	v_pk_mul_f16 v60, v68, s6 op_sel_hi:[1,0]
	v_pk_add_f16 v29, v61, v29 op_sel:[1,0] op_sel_hi:[0,1]
	v_pk_fma_f16 v67, v28, s21, v60 op_sel:[0,0,1] op_sel_hi:[1,0,0]
	v_pk_fma_f16 v28, v28, s21, v60 op_sel:[0,0,1] op_sel_hi:[1,0,0] neg_lo:[1,0,0] neg_hi:[1,0,0]
	v_pk_add_f16 v28, v28, v29
	v_pk_add_f16 v29, v67, v59
	v_pk_mul_f16 v59, v66, s16 op_sel_hi:[1,0]
	v_pk_fma_f16 v60, v27, s15, v59 op_sel:[0,0,1] op_sel_hi:[1,0,0]
	v_pk_fma_f16 v27, v27, s15, v59 op_sel:[0,0,1] op_sel_hi:[1,0,0] neg_lo:[1,0,0] neg_hi:[1,0,0]
	v_pk_add_f16 v27, v27, v28
	v_pk_add_f16 v28, v60, v29
	v_pk_mul_f16 v29, v64, s4 op_sel_hi:[1,0]
	v_pk_add_f16 v65, v61, v65
	v_alignbit_b32 v68, s0, v67, 16
	v_pk_fma_f16 v59, v73, s5, v29 op_sel:[0,0,1] op_sel_hi:[1,0,0]
	v_pk_fma_f16 v29, v73, s5, v29 op_sel:[0,0,1] op_sel_hi:[1,0,0] neg_lo:[1,0,0] neg_hi:[1,0,0]
	v_pk_add_f16 v65, v68, v65
	v_alignbit_b32 v66, s0, v60, 16
	v_alignbit_b32 v60, s0, v59, 16
	v_pk_add_f16 v27, v29, v27
	v_pk_add_f16 v29, v59, v28
	v_pk_mul_f16 v59, v77, s7 op_sel_hi:[1,0]
	v_pk_add_f16 v65, v66, v65
	v_pk_fma_f16 v64, v78, s1, v59 op_sel:[0,0,1] op_sel_hi:[1,0,0]
	v_pk_add_f16 v60, v60, v65
	v_alignbit_b32 v28, s0, v64, 16
	v_pk_fma_f16 v59, v78, s1, v59 op_sel:[0,0,1] op_sel_hi:[1,0,0] neg_lo:[1,0,0] neg_hi:[1,0,0]
	v_pk_add_f16 v28, v28, v60
	v_pk_add_f16 v59, v59, v27
	;; [unrolled: 1-line block ×3, first 2 shown]
	v_add_f16_e32 v58, v56, v58
	v_alignbit_b32 v27, v60, v59, 16
	v_pack_b32_f16 v64, v28, v59
	ds_write2_b32 v47, v64, v27 offset0:5 offset1:6
	v_pack_b32_f16 v27, v25, v53
	v_pack_b32_f16 v64, v24, v58
	ds_write2_b32 v47, v64, v27 offset0:7 offset1:8
	v_bfi_b32 v27, s0, v63, v62
	v_pk_add_f16 v27, v61, v27
	v_bfi_b32 v61, s0, v70, v69
	v_pk_add_f16 v27, v61, v27
	;; [unrolled: 2-line block ×5, first 2 shown]
	v_lshrrev_b32_e32 v56, 16, v20
	v_lshrrev_b32_e32 v29, 16, v59
	;; [unrolled: 1-line block ×3, first 2 shown]
	v_pack_b32_f16 v62, v26, v54
	ds_write2_b32 v47, v46, v20 offset1:1
	ds_write2_b32 v47, v62, v27 offset0:9 offset1:10
	s_waitcnt lgkmcnt(0)
	; wave barrier
	s_waitcnt lgkmcnt(0)
	s_and_saveexec_b64 s[0:1], vcc
	s_cbranch_execz .LBB0_7
; %bb.6:
	ds_read2_b32 v[20:21], v34 offset0:11 offset1:22
	ds_read2_b32 v[22:23], v34 offset0:33 offset1:44
	;; [unrolled: 1-line block ×7, first 2 shown]
	ds_read_b32 v46, v45
	ds_read_b32 v49, v34 offset:660
	s_waitcnt lgkmcnt(8)
	v_lshrrev_b32_e32 v56, 16, v20
	v_lshrrev_b32_e32 v57, 16, v21
	s_waitcnt lgkmcnt(7)
	v_lshrrev_b32_e32 v55, 16, v22
	v_lshrrev_b32_e32 v52, 16, v23
	;; [unrolled: 3-line block ×7, first 2 shown]
	s_waitcnt lgkmcnt(0)
	v_lshrrev_b32_e32 v50, 16, v49
.LBB0_7:
	s_or_b64 exec, exec, s[0:1]
	s_and_saveexec_b64 s[0:1], vcc
	s_cbranch_execz .LBB0_9
; %bb.8:
	v_mul_f16_sdwa v66, v10, v58 dst_sel:DWORD dst_unused:UNUSED_PAD src0_sel:WORD_1 src1_sel:DWORD
	v_mul_f16_sdwa v63, v9, v60 dst_sel:DWORD dst_unused:UNUSED_PAD src0_sel:WORD_1 src1_sel:DWORD
	;; [unrolled: 1-line block ×3, first 2 shown]
	v_fma_f16 v66, v10, v24, v66
	v_mul_f16_sdwa v24, v10, v24 dst_sel:DWORD dst_unused:UNUSED_PAD src0_sel:WORD_1 src1_sel:DWORD
	v_fma_f16 v63, v9, v29, v63
	v_fma_f16 v64, v13, v19, v64
	v_mul_f16_sdwa v29, v9, v29 dst_sel:DWORD dst_unused:UNUSED_PAD src0_sel:WORD_1 src1_sel:DWORD
	v_mul_f16_sdwa v19, v13, v19 dst_sel:DWORD dst_unused:UNUSED_PAD src0_sel:WORD_1 src1_sel:DWORD
	;; [unrolled: 1-line block ×3, first 2 shown]
	v_fma_f16 v10, v10, v58, -v24
	v_mul_f16_sdwa v24, v14, v49 dst_sel:DWORD dst_unused:UNUSED_PAD src0_sel:WORD_1 src1_sel:DWORD
	v_mul_f16_sdwa v47, v1, v21 dst_sel:DWORD dst_unused:UNUSED_PAD src0_sel:WORD_1 src1_sel:DWORD
	v_fma_f16 v9, v9, v60, -v29
	v_fma_f16 v13, v13, v51, -v19
	v_mul_f16_sdwa v19, v1, v57 dst_sel:DWORD dst_unused:UNUSED_PAD src0_sel:WORD_1 src1_sel:DWORD
	v_mul_f16_sdwa v60, v2, v22 dst_sel:DWORD dst_unused:UNUSED_PAD src0_sel:WORD_1 src1_sel:DWORD
	v_fma_f16 v67, v14, v49, v67
	v_mul_f16_sdwa v71, v8, v59 dst_sel:DWORD dst_unused:UNUSED_PAD src0_sel:WORD_1 src1_sel:DWORD
	v_mul_f16_sdwa v72, v12, v48 dst_sel:DWORD dst_unused:UNUSED_PAD src0_sel:WORD_1 src1_sel:DWORD
	v_fma_f16 v14, v14, v50, -v24
	v_mul_f16_sdwa v24, v2, v55 dst_sel:DWORD dst_unused:UNUSED_PAD src0_sel:WORD_1 src1_sel:DWORD
	v_fma_f16 v47, v1, v57, -v47
	v_mul_f16_sdwa v62, v5, v27 dst_sel:DWORD dst_unused:UNUSED_PAD src0_sel:WORD_1 src1_sel:DWORD
	v_fma_f16 v1, v1, v21, v19
	v_mul_f16_sdwa v19, v5, v61 dst_sel:DWORD dst_unused:UNUSED_PAD src0_sel:WORD_1 src1_sel:DWORD
	v_mul_f16_sdwa v21, v3, v23 dst_sel:DWORD dst_unused:UNUSED_PAD src0_sel:WORD_1 src1_sel:DWORD
	;; [unrolled: 1-line block ×3, first 2 shown]
	v_fma_f16 v60, v2, v55, -v60
	v_fma_f16 v71, v8, v28, v71
	v_fma_f16 v72, v12, v18, v72
	v_fma_f16 v2, v2, v22, v24
	v_mul_f16_sdwa v24, v8, v28 dst_sel:DWORD dst_unused:UNUSED_PAD src0_sel:WORD_1 src1_sel:DWORD
	v_mul_f16_sdwa v18, v12, v18 dst_sel:DWORD dst_unused:UNUSED_PAD src0_sel:WORD_1 src1_sel:DWORD
	;; [unrolled: 1-line block ×3, first 2 shown]
	v_fma_f16 v62, v5, v61, -v62
	v_fma_f16 v5, v5, v27, v19
	v_fma_f16 v21, v3, v52, -v21
	v_mul_f16_sdwa v27, v7, v17 dst_sel:DWORD dst_unused:UNUSED_PAD src0_sel:WORD_1 src1_sel:DWORD
	v_fma_f16 v29, v11, v25, v29
	v_mul_f16_sdwa v61, v6, v16 dst_sel:DWORD dst_unused:UNUSED_PAD src0_sel:WORD_1 src1_sel:DWORD
	v_mul_f16_sdwa v69, v0, v20 dst_sel:DWORD dst_unused:UNUSED_PAD src0_sel:WORD_1 src1_sel:DWORD
	;; [unrolled: 1-line block ×3, first 2 shown]
	v_fma_f16 v12, v12, v48, -v18
	v_mul_f16_sdwa v18, v0, v56 dst_sel:DWORD dst_unused:UNUSED_PAD src0_sel:WORD_1 src1_sel:DWORD
	v_mul_f16_sdwa v25, v11, v25 dst_sel:DWORD dst_unused:UNUSED_PAD src0_sel:WORD_1 src1_sel:DWORD
	v_fma_f16 v3, v3, v23, v28
	v_mul_f16_sdwa v23, v7, v30 dst_sel:DWORD dst_unused:UNUSED_PAD src0_sel:WORD_1 src1_sel:DWORD
	v_fma_f16 v27, v7, v30, -v27
	v_fma_f16 v61, v6, v31, -v61
	;; [unrolled: 1-line block ×4, first 2 shown]
	v_mul_f16_sdwa v22, v6, v31 dst_sel:DWORD dst_unused:UNUSED_PAD src0_sel:WORD_1 src1_sel:DWORD
	v_fma_f16 v0, v0, v20, v18
	v_mul_f16_sdwa v18, v4, v54 dst_sel:DWORD dst_unused:UNUSED_PAD src0_sel:WORD_1 src1_sel:DWORD
	v_fma_f16 v11, v11, v53, -v25
	v_lshrrev_b32_e32 v25, 16, v46
	v_fma_f16 v7, v7, v17, v23
	v_sub_f16_e32 v62, v47, v62
	v_sub_f16_e32 v64, v63, v64
	v_sub_f16_e32 v13, v9, v13
	v_sub_f16_e32 v5, v1, v5
	v_sub_f16_e32 v27, v21, v27
	v_sub_f16_e32 v29, v46, v29
	v_sub_f16_e32 v61, v60, v61
	v_sub_f16_e32 v67, v66, v67
	v_sub_f16_e32 v70, v69, v70
	v_sub_f16_e32 v72, v71, v72
	v_fma_f16 v6, v6, v16, v22
	v_fma_f16 v8, v8, v59, -v24
	v_fma_f16 v4, v4, v26, v18
	v_sub_f16_e32 v11, v25, v11
	v_sub_f16_e32 v7, v3, v7
	;; [unrolled: 1-line block ×3, first 2 shown]
	v_add_f16_e32 v19, v13, v5
	v_add_f16_e32 v51, v27, v29
	s_movk_i32 s4, 0x39a8
	v_sub_f16_e32 v68, v61, v67
	v_sub_f16_e32 v73, v70, v72
	;; [unrolled: 1-line block ×7, first 2 shown]
	v_add_f16_e32 v16, v14, v6
	s_mov_b32 s5, 0xb9a8
	v_add_f16_e32 v18, v12, v4
	v_fma_f16 v23, v65, s4, v17
	v_fma_f16 v31, v47, 2.0, -v62
	v_fma_f16 v9, v9, 2.0, -v13
	;; [unrolled: 1-line block ×13, first 2 shown]
	v_fma_f16 v57, v19, s4, v51
	v_fma_f16 v74, v68, s4, v73
	;; [unrolled: 1-line block ×3, first 2 shown]
	v_sub_f16_e32 v9, v31, v9
	v_sub_f16_e32 v3, v13, v3
	v_fma_f16 v46, v69, 2.0, -v70
	v_fma_f16 v8, v8, 2.0, -v12
	;; [unrolled: 1-line block ×4, first 2 shown]
	v_sub_f16_e32 v10, v48, v10
	v_sub_f16_e32 v14, v0, v14
	v_fma_f16 v25, v25, 2.0, -v11
	v_fma_f16 v21, v21, 2.0, -v27
	;; [unrolled: 1-line block ×4, first 2 shown]
	v_fma_f16 v19, v5, s5, v29
	v_fma_f16 v60, v59, s5, v58
	v_fma_f16 v6, v6, 2.0, -v16
	v_fma_f16 v4, v4, 2.0, -v18
	;; [unrolled: 1-line block ×3, first 2 shown]
	v_fma_f16 v22, v16, s5, v74
	v_fma_f16 v20, v16, s4, v18
	v_add_f16_e32 v7, v9, v3
	v_sub_f16_e32 v8, v46, v8
	v_sub_f16_e32 v12, v2, v12
	v_add_f16_e32 v49, v10, v14
	v_sub_f16_e32 v21, v25, v21
	v_sub_f16_e32 v27, v1, v27
	v_fma_f16 v19, v56, s4, v19
	v_fma_f16 v16, v6, s5, v60
	;; [unrolled: 1-line block ×4, first 2 shown]
	s_movk_i32 s7, 0x361f
	v_sub_f16_e32 v47, v8, v12
	v_fma_f16 v50, v49, s4, v7
	v_sub_f16_e32 v53, v21, v27
	v_fma_f16 v6, v59, s4, v6
	v_fma_f16 v5, v5, s5, v56
	v_fma_f16 v13, v13, 2.0, -v3
	v_fma_f16 v1, v1, 2.0, -v27
	;; [unrolled: 1-line block ×8, first 2 shown]
	s_movk_i32 s6, 0x3b64
	v_fma_f16 v50, v47, s4, v50
	v_fma_f16 v59, v6, s7, v19
	;; [unrolled: 1-line block ×3, first 2 shown]
	s_mov_b32 s13, 0xbb64
	v_sub_f16_e32 v1, v13, v1
	v_sub_f16_e32 v10, v27, v10
	;; [unrolled: 1-line block ×4, first 2 shown]
	v_fma_f16 v57, v65, s4, v57
	v_fma_f16 v20, v68, s4, v20
	v_fma_f16 v52, v7, 2.0, -v50
	v_fma_f16 v59, v16, s6, v59
	v_fma_f16 v56, v6, s13, v56
	v_add_f16_e32 v46, v1, v10
	v_sub_f16_e32 v12, v9, v2
	v_fma_f16 v3, v3, 2.0, -v7
	v_fma_f16 v7, v8, 2.0, -v47
	;; [unrolled: 1-line block ×3, first 2 shown]
	v_fma_f16 v24, v20, s6, v57
	v_fma_f16 v28, v22, s6, v23
	s_mov_b32 s12, 0xb61f
	v_fma_f16 v60, v19, 2.0, -v59
	v_fma_f16 v61, v5, 2.0, -v56
	;; [unrolled: 1-line block ×6, first 2 shown]
	v_fma_f16 v14, v8, s5, v3
	v_fma_f16 v21, v21, 2.0, -v53
	v_fma_f16 v19, v29, 2.0, -v19
	;; [unrolled: 1-line block ×9, first 2 shown]
	v_fma_f16 v24, v22, s7, v24
	v_fma_f16 v28, v20, s12, v28
	v_fma_f16 v22, v73, 2.0, -v22
	v_fma_f16 v20, v18, s12, v51
	v_fma_f16 v17, v17, 2.0, -v23
	v_fma_f16 v14, v7, s4, v14
	v_fma_f16 v7, v7, s5, v21
	;; [unrolled: 1-line block ×4, first 2 shown]
	v_sub_f16_e32 v0, v1, v0
	v_sub_f16_e32 v9, v2, v9
	v_fma_f16 v20, v22, s6, v20
	v_fma_f16 v22, v22, s12, v17
	;; [unrolled: 1-line block ×5, first 2 shown]
	v_fma_f16 v1, v1, 2.0, -v0
	v_fma_f16 v2, v2, 2.0, -v9
	v_fma_f16 v54, v47, s4, v53
	v_fma_f16 v18, v18, s13, v22
	v_fma_f16 v3, v3, 2.0, -v14
	v_fma_f16 v8, v21, 2.0, -v7
	;; [unrolled: 1-line block ×4, first 2 shown]
	v_pack_b32_f16 v1, v1, v2
	v_fma_f16 v54, v49, s5, v54
	v_fma_f16 v51, v51, 2.0, -v20
	v_fma_f16 v17, v17, 2.0, -v18
	ds_write_b32 v45, v1
	v_pack_b32_f16 v1, v19, v5
	v_pack_b32_f16 v2, v3, v8
	v_fma_f16 v55, v53, 2.0, -v54
	ds_write2_b32 v34, v1, v2 offset0:11 offset1:22
	v_pack_b32_f16 v1, v51, v17
	v_pack_b32_f16 v2, v48, v31
	v_fma_f16 v26, v57, 2.0, -v24
	v_fma_f16 v30, v23, 2.0, -v28
	ds_write2_b32 v34, v1, v2 offset0:33 offset1:44
	v_pack_b32_f16 v1, v60, v61
	v_pack_b32_f16 v2, v52, v55
	ds_write2_b32 v34, v1, v2 offset0:55 offset1:66
	v_pack_b32_f16 v1, v26, v30
	v_pack_b32_f16 v0, v0, v9
	;; [unrolled: 3-line block ×5, first 2 shown]
	ds_write2_b32 v34, v0, v1 offset0:143 offset1:154
	v_pack_b32_f16 v0, v24, v28
	ds_write_b32 v34, v0 offset:660
.LBB0_9:
	s_or_b64 exec, exec, s[0:1]
	s_waitcnt lgkmcnt(0)
	; wave barrier
	s_waitcnt lgkmcnt(0)
	ds_read_b32 v5, v45
	s_mov_b32 s4, 0x745d1746
	s_mov_b32 s5, 0x3f7745d1
	v_mad_u64_u32 v[2:3], s[0:1], s10, v15, 0
	s_waitcnt lgkmcnt(0)
	v_lshrrev_b32_e32 v6, 16, v5
	v_mul_f16_sdwa v0, v44, v6 dst_sel:DWORD dst_unused:UNUSED_PAD src0_sel:WORD_1 src1_sel:DWORD
	v_fma_f16 v0, v44, v5, v0
	v_cvt_f32_f16_e32 v0, v0
	s_movk_i32 s6, 0x1ff
	v_mad_u64_u32 v[3:4], s[0:1], s11, v15, v[3:4]
	v_cvt_f64_f32_e32 v[0:1], v0
	s_movk_i32 s7, 0xffe
	s_movk_i32 s10, 0x40f
	s_mov_b32 s11, 0x8000
	v_mul_f64 v[0:1], v[0:1], s[4:5]
	v_and_or_b32 v0, v1, s6, v0
	v_cmp_ne_u32_e32 vcc, 0, v0
	v_lshrrev_b32_e32 v4, 8, v1
	v_bfe_u32 v7, v1, 20, 11
	v_cndmask_b32_e64 v0, 0, 1, vcc
	v_sub_u32_e32 v8, 0x3f1, v7
	v_and_or_b32 v9, v4, s7, v0
	v_med3_i32 v0, v8, 0, 13
	v_or_b32_e32 v4, 0x1000, v9
	v_lshrrev_b32_e32 v8, v0, v4
	v_lshlrev_b32_e32 v0, v0, v8
	v_cmp_ne_u32_e32 vcc, v0, v4
	v_cndmask_b32_e64 v0, 0, 1, vcc
	v_add_u32_e32 v7, 0xfffffc10, v7
	v_or_b32_e32 v0, v8, v0
	v_lshl_or_b32 v4, v7, 12, v9
	v_cmp_gt_i32_e32 vcc, 1, v7
	v_cndmask_b32_e32 v0, v4, v0, vcc
	v_and_b32_e32 v4, 7, v0
	v_cmp_lt_i32_e32 vcc, 5, v4
	v_cmp_eq_u32_e64 s[0:1], 3, v4
	v_mul_f16_sdwa v4, v44, v5 dst_sel:DWORD dst_unused:UNUSED_PAD src0_sel:WORD_1 src1_sel:DWORD
	v_fma_f16 v4, v44, v6, -v4
	v_cvt_f32_f16_e32 v4, v4
	v_lshrrev_b32_e32 v0, 2, v0
	s_or_b64 vcc, s[0:1], vcc
	v_addc_co_u32_e32 v6, vcc, 0, v0, vcc
	v_cvt_f64_f32_e32 v[4:5], v4
	v_mov_b32_e32 v0, 0x7c00
	v_cmp_gt_i32_e32 vcc, 31, v7
	v_cndmask_b32_e32 v6, v0, v6, vcc
	v_mul_f64 v[4:5], v[4:5], s[4:5]
	v_cmp_ne_u32_e32 vcc, 0, v9
	v_cndmask_b32_e64 v8, 0, 1, vcc
	v_lshl_or_b32 v8, v8, 9, v0
	v_cmp_eq_u32_e32 vcc, s10, v7
	v_cndmask_b32_e32 v6, v6, v8, vcc
	v_lshrrev_b32_e32 v1, 16, v1
	v_and_or_b32 v10, v1, s11, v6
	v_and_or_b32 v1, v5, s6, v4
	v_cmp_ne_u32_e32 vcc, 0, v1
	v_cndmask_b32_e64 v1, 0, 1, vcc
	v_lshrrev_b32_e32 v4, 8, v5
	v_bfe_u32 v6, v5, 20, 11
	v_and_or_b32 v1, v4, s7, v1
	v_sub_u32_e32 v7, 0x3f1, v6
	v_or_b32_e32 v4, 0x1000, v1
	v_med3_i32 v7, v7, 0, 13
	v_lshrrev_b32_e32 v8, v7, v4
	v_lshlrev_b32_e32 v7, v7, v8
	v_cmp_ne_u32_e32 vcc, v7, v4
	v_cndmask_b32_e64 v4, 0, 1, vcc
	v_or_b32_e32 v4, v8, v4
	v_add_u32_e32 v8, 0xfffffc10, v6
	v_lshl_or_b32 v6, v8, 12, v1
	v_cmp_gt_i32_e32 vcc, 1, v8
	v_cndmask_b32_e32 v4, v6, v4, vcc
	v_and_b32_e32 v6, 7, v4
	v_cmp_lt_i32_e32 vcc, 5, v6
	v_cmp_eq_u32_e64 s[0:1], 3, v6
	v_lshrrev_b32_e32 v4, 2, v4
	s_or_b64 vcc, s[0:1], vcc
	v_addc_co_u32_e32 v4, vcc, 0, v4, vcc
	v_cmp_gt_i32_e32 vcc, 31, v8
	v_cndmask_b32_e32 v4, v0, v4, vcc
	v_cmp_ne_u32_e32 vcc, 0, v1
	v_cndmask_b32_e64 v1, 0, 1, vcc
	v_cmp_eq_u32_e32 vcc, s10, v8
	ds_read2_b32 v[8:9], v34 offset0:16 offset1:32
	v_mad_u64_u32 v[6:7], s[0:1], s8, v43, 0
	v_lshl_or_b32 v1, v1, 9, v0
	v_cndmask_b32_e32 v11, v4, v1, vcc
	v_mov_b32_e32 v1, v7
	s_waitcnt lgkmcnt(0)
	v_lshrrev_b32_e32 v13, 16, v8
	v_lshrrev_b32_e32 v12, 16, v5
	v_mad_u64_u32 v[4:5], s[0:1], s9, v43, v[1:2]
	v_mul_f16_sdwa v1, v42, v13 dst_sel:DWORD dst_unused:UNUSED_PAD src0_sel:WORD_1 src1_sel:DWORD
	v_fma_f16 v1, v42, v8, v1
	v_cvt_f32_f16_e32 v1, v1
	v_mov_b32_e32 v7, v4
	v_and_or_b32 v11, v12, s11, v11
	v_and_b32_e32 v10, 0xffff, v10
	v_cvt_f64_f32_e32 v[4:5], v1
	v_lshlrev_b64 v[1:2], 2, v[2:3]
	v_lshl_or_b32 v10, v11, 16, v10
	v_mov_b32_e32 v11, s3
	v_mul_f64 v[3:4], v[4:5], s[4:5]
	v_add_co_u32_e32 v5, vcc, s2, v1
	v_addc_co_u32_e32 v11, vcc, v11, v2, vcc
	v_lshlrev_b64 v[1:2], 2, v[6:7]
	v_mul_f16_sdwa v8, v42, v8 dst_sel:DWORD dst_unused:UNUSED_PAD src0_sel:WORD_1 src1_sel:DWORD
	v_add_co_u32_e32 v5, vcc, v5, v1
	v_addc_co_u32_e32 v6, vcc, v11, v2, vcc
	v_and_or_b32 v1, v4, s6, v3
	v_cmp_ne_u32_e32 vcc, 0, v1
	v_cndmask_b32_e64 v1, 0, 1, vcc
	v_lshrrev_b32_e32 v2, 8, v4
	v_and_or_b32 v3, v2, s7, v1
	v_bfe_u32 v2, v4, 20, 11
	v_sub_u32_e32 v7, 0x3f1, v2
	v_or_b32_e32 v1, 0x1000, v3
	v_med3_i32 v7, v7, 0, 13
	global_store_dword v[5:6], v10, off
	v_lshrrev_b32_e32 v10, v7, v1
	v_lshlrev_b32_e32 v7, v7, v10
	v_cmp_ne_u32_e32 vcc, v7, v1
	v_fma_f16 v8, v42, v13, -v8
	v_cndmask_b32_e64 v1, 0, 1, vcc
	v_add_u32_e32 v7, 0xfffffc10, v2
	v_cvt_f32_f16_e32 v8, v8
	v_or_b32_e32 v1, v10, v1
	v_lshl_or_b32 v2, v7, 12, v3
	v_cmp_gt_i32_e32 vcc, 1, v7
	v_cndmask_b32_e32 v1, v2, v1, vcc
	v_and_b32_e32 v2, 7, v1
	v_cmp_lt_i32_e32 vcc, 5, v2
	v_cmp_eq_u32_e64 s[0:1], 3, v2
	v_lshrrev_b32_e32 v10, 2, v1
	v_cvt_f64_f32_e32 v[1:2], v8
	s_or_b64 vcc, s[0:1], vcc
	v_addc_co_u32_e32 v8, vcc, 0, v10, vcc
	v_mul_f64 v[1:2], v[1:2], s[4:5]
	v_cmp_gt_i32_e32 vcc, 31, v7
	v_cndmask_b32_e32 v8, v0, v8, vcc
	v_cmp_ne_u32_e32 vcc, 0, v3
	v_cndmask_b32_e64 v3, 0, 1, vcc
	v_lshl_or_b32 v3, v3, 9, v0
	v_cmp_eq_u32_e32 vcc, s10, v7
	v_cndmask_b32_e32 v3, v8, v3, vcc
	v_and_or_b32 v1, v2, s6, v1
	v_lshrrev_b32_e32 v4, 16, v4
	v_cmp_ne_u32_e32 vcc, 0, v1
	v_and_or_b32 v3, v4, s11, v3
	v_cndmask_b32_e64 v1, 0, 1, vcc
	v_lshrrev_b32_e32 v4, 8, v2
	v_bfe_u32 v7, v2, 20, 11
	v_and_or_b32 v1, v4, s7, v1
	v_sub_u32_e32 v8, 0x3f1, v7
	v_or_b32_e32 v4, 0x1000, v1
	v_med3_i32 v8, v8, 0, 13
	v_lshrrev_b32_e32 v10, v8, v4
	v_lshlrev_b32_e32 v8, v8, v10
	v_cmp_ne_u32_e32 vcc, v8, v4
	v_cndmask_b32_e64 v4, 0, 1, vcc
	v_add_u32_e32 v7, 0xfffffc10, v7
	v_or_b32_e32 v4, v10, v4
	v_lshl_or_b32 v8, v7, 12, v1
	v_cmp_gt_i32_e32 vcc, 1, v7
	v_cndmask_b32_e32 v4, v8, v4, vcc
	v_and_b32_e32 v8, 7, v4
	v_cmp_lt_i32_e32 vcc, 5, v8
	v_cmp_eq_u32_e64 s[0:1], 3, v8
	v_lshrrev_b32_e32 v8, 16, v9
	v_lshrrev_b32_e32 v4, 2, v4
	s_or_b64 vcc, s[0:1], vcc
	v_mul_f16_sdwa v10, v41, v8 dst_sel:DWORD dst_unused:UNUSED_PAD src0_sel:WORD_1 src1_sel:DWORD
	v_addc_co_u32_e32 v4, vcc, 0, v4, vcc
	v_fma_f16 v10, v41, v9, v10
	v_cmp_gt_i32_e32 vcc, 31, v7
	v_cvt_f32_f16_e32 v10, v10
	v_cndmask_b32_e32 v4, v0, v4, vcc
	v_cmp_ne_u32_e32 vcc, 0, v1
	v_cndmask_b32_e64 v1, 0, 1, vcc
	v_lshl_or_b32 v1, v1, 9, v0
	v_cmp_eq_u32_e32 vcc, s10, v7
	v_cndmask_b32_e32 v4, v4, v1, vcc
	v_lshrrev_b32_e32 v7, 16, v2
	v_cvt_f64_f32_e32 v[1:2], v10
	v_and_or_b32 v4, v7, s11, v4
	v_and_b32_e32 v3, 0xffff, v3
	v_lshl_or_b32 v7, v4, 16, v3
	v_mul_f64 v[2:3], v[1:2], s[4:5]
	s_lshl_b64 s[2:3], s[8:9], 6
	v_mov_b32_e32 v1, s3
	v_add_co_u32_e32 v4, vcc, s2, v5
	v_addc_co_u32_e32 v5, vcc, v6, v1, vcc
	global_store_dword v[4:5], v7, off
	v_and_or_b32 v2, v3, s6, v2
	v_cmp_ne_u32_e32 vcc, 0, v2
	v_cndmask_b32_e64 v2, 0, 1, vcc
	v_lshrrev_b32_e32 v6, 8, v3
	v_bfe_u32 v7, v3, 20, 11
	v_and_or_b32 v2, v6, s7, v2
	v_sub_u32_e32 v10, 0x3f1, v7
	v_or_b32_e32 v6, 0x1000, v2
	v_med3_i32 v10, v10, 0, 13
	v_lshrrev_b32_e32 v11, v10, v6
	v_lshlrev_b32_e32 v10, v10, v11
	v_mul_f16_sdwa v9, v41, v9 dst_sel:DWORD dst_unused:UNUSED_PAD src0_sel:WORD_1 src1_sel:DWORD
	v_cmp_ne_u32_e32 vcc, v10, v6
	v_fma_f16 v8, v41, v8, -v9
	v_cndmask_b32_e64 v6, 0, 1, vcc
	v_add_u32_e32 v10, 0xfffffc10, v7
	v_cvt_f32_f16_e32 v8, v8
	v_or_b32_e32 v6, v11, v6
	v_lshl_or_b32 v7, v10, 12, v2
	v_cmp_gt_i32_e32 vcc, 1, v10
	v_cndmask_b32_e32 v6, v7, v6, vcc
	v_and_b32_e32 v7, 7, v6
	v_cmp_lt_i32_e32 vcc, 5, v7
	v_cmp_eq_u32_e64 s[0:1], 3, v7
	v_lshrrev_b32_e32 v9, 2, v6
	v_cvt_f64_f32_e32 v[6:7], v8
	s_or_b64 vcc, s[0:1], vcc
	v_addc_co_u32_e32 v8, vcc, 0, v9, vcc
	v_mul_f64 v[6:7], v[6:7], s[4:5]
	v_cmp_gt_i32_e32 vcc, 31, v10
	v_cndmask_b32_e32 v8, v0, v8, vcc
	v_cmp_ne_u32_e32 vcc, 0, v2
	v_cndmask_b32_e64 v2, 0, 1, vcc
	v_lshl_or_b32 v2, v2, 9, v0
	v_cmp_eq_u32_e32 vcc, s10, v10
	v_cndmask_b32_e32 v2, v8, v2, vcc
	v_lshrrev_b32_e32 v3, 16, v3
	v_and_or_b32 v10, v3, s11, v2
	v_and_or_b32 v2, v7, s6, v6
	v_cmp_ne_u32_e32 vcc, 0, v2
	v_cndmask_b32_e64 v2, 0, 1, vcc
	v_lshrrev_b32_e32 v3, 8, v7
	v_and_or_b32 v6, v3, s7, v2
	v_bfe_u32 v3, v7, 20, 11
	v_sub_u32_e32 v8, 0x3f1, v3
	v_or_b32_e32 v2, 0x1000, v6
	v_med3_i32 v8, v8, 0, 13
	v_lshrrev_b32_e32 v9, v8, v2
	v_lshlrev_b32_e32 v8, v8, v9
	v_cmp_ne_u32_e32 vcc, v8, v2
	v_cndmask_b32_e64 v2, 0, 1, vcc
	v_add_u32_e32 v11, 0xfffffc10, v3
	v_or_b32_e32 v2, v9, v2
	v_lshl_or_b32 v3, v11, 12, v6
	v_cmp_gt_i32_e32 vcc, 1, v11
	v_cndmask_b32_e32 v2, v3, v2, vcc
	v_and_b32_e32 v3, 7, v2
	v_cmp_lt_i32_e32 vcc, 5, v3
	v_cmp_eq_u32_e64 s[0:1], 3, v3
	v_lshrrev_b32_e32 v8, 2, v2
	ds_read2_b32 v[2:3], v34 offset0:48 offset1:64
	s_or_b64 vcc, s[0:1], vcc
	v_addc_co_u32_e32 v8, vcc, 0, v8, vcc
	v_cmp_gt_i32_e32 vcc, 31, v11
	s_waitcnt lgkmcnt(0)
	v_lshrrev_b32_e32 v13, 16, v2
	v_cndmask_b32_e32 v12, v0, v8, vcc
	v_mul_f16_sdwa v8, v40, v13 dst_sel:DWORD dst_unused:UNUSED_PAD src0_sel:WORD_1 src1_sel:DWORD
	v_fma_f16 v8, v40, v2, v8
	v_cvt_f32_f16_e32 v8, v8
	v_cmp_ne_u32_e32 vcc, 0, v6
	v_cndmask_b32_e64 v6, 0, 1, vcc
	v_lshl_or_b32 v6, v6, 9, v0
	v_cvt_f64_f32_e32 v[8:9], v8
	v_cmp_eq_u32_e32 vcc, s10, v11
	v_cndmask_b32_e32 v6, v12, v6, vcc
	v_lshrrev_b32_e32 v7, 16, v7
	v_and_or_b32 v11, v7, s11, v6
	v_mul_f64 v[6:7], v[8:9], s[4:5]
	v_add_co_u32_e32 v4, vcc, s2, v4
	v_and_b32_e32 v8, 0xffff, v10
	v_addc_co_u32_e32 v5, vcc, v5, v1, vcc
	v_lshl_or_b32 v8, v11, 16, v8
	global_store_dword v[4:5], v8, off
	v_and_or_b32 v6, v7, s6, v6
	v_cmp_ne_u32_e32 vcc, 0, v6
	v_cndmask_b32_e64 v6, 0, 1, vcc
	v_lshrrev_b32_e32 v8, 8, v7
	v_bfe_u32 v9, v7, 20, 11
	v_and_or_b32 v6, v8, s7, v6
	v_sub_u32_e32 v10, 0x3f1, v9
	v_or_b32_e32 v8, 0x1000, v6
	v_med3_i32 v10, v10, 0, 13
	v_lshrrev_b32_e32 v11, v10, v8
	v_lshlrev_b32_e32 v10, v10, v11
	v_mul_f16_sdwa v2, v40, v2 dst_sel:DWORD dst_unused:UNUSED_PAD src0_sel:WORD_1 src1_sel:DWORD
	v_cmp_ne_u32_e32 vcc, v10, v8
	v_fma_f16 v2, v40, v13, -v2
	v_cndmask_b32_e64 v8, 0, 1, vcc
	v_add_u32_e32 v10, 0xfffffc10, v9
	v_cvt_f32_f16_e32 v2, v2
	v_or_b32_e32 v8, v11, v8
	v_lshl_or_b32 v9, v10, 12, v6
	v_cmp_gt_i32_e32 vcc, 1, v10
	v_cndmask_b32_e32 v8, v9, v8, vcc
	v_and_b32_e32 v9, 7, v8
	v_cmp_lt_i32_e32 vcc, 5, v9
	v_cmp_eq_u32_e64 s[0:1], 3, v9
	v_lshrrev_b32_e32 v11, 2, v8
	v_cvt_f64_f32_e32 v[8:9], v2
	s_or_b64 vcc, s[0:1], vcc
	v_addc_co_u32_e32 v2, vcc, 0, v11, vcc
	v_mul_f64 v[8:9], v[8:9], s[4:5]
	v_cmp_gt_i32_e32 vcc, 31, v10
	v_cndmask_b32_e32 v2, v0, v2, vcc
	v_cmp_ne_u32_e32 vcc, 0, v6
	v_cndmask_b32_e64 v6, 0, 1, vcc
	v_lshl_or_b32 v6, v6, 9, v0
	v_cmp_eq_u32_e32 vcc, s10, v10
	v_cndmask_b32_e32 v2, v2, v6, vcc
	v_lshrrev_b32_e32 v6, 16, v7
	v_and_or_b32 v2, v6, s11, v2
	v_and_or_b32 v6, v9, s6, v8
	v_cmp_ne_u32_e32 vcc, 0, v6
	v_cndmask_b32_e64 v6, 0, 1, vcc
	v_lshrrev_b32_e32 v7, 8, v9
	v_bfe_u32 v8, v9, 20, 11
	v_and_or_b32 v6, v7, s7, v6
	v_sub_u32_e32 v10, 0x3f1, v8
	v_or_b32_e32 v7, 0x1000, v6
	v_med3_i32 v10, v10, 0, 13
	v_lshrrev_b32_e32 v11, v10, v7
	v_lshlrev_b32_e32 v10, v10, v11
	v_cmp_ne_u32_e32 vcc, v10, v7
	v_cndmask_b32_e64 v7, 0, 1, vcc
	v_add_u32_e32 v8, 0xfffffc10, v8
	v_or_b32_e32 v7, v11, v7
	v_lshl_or_b32 v10, v8, 12, v6
	v_cmp_gt_i32_e32 vcc, 1, v8
	v_cndmask_b32_e32 v7, v10, v7, vcc
	v_and_b32_e32 v10, 7, v7
	v_cmp_lt_i32_e32 vcc, 5, v10
	v_cmp_eq_u32_e64 s[0:1], 3, v10
	v_lshrrev_b32_e32 v7, 2, v7
	s_or_b64 vcc, s[0:1], vcc
	v_addc_co_u32_e32 v7, vcc, 0, v7, vcc
	v_cmp_gt_i32_e32 vcc, 31, v8
	v_lshrrev_b32_e32 v11, 16, v3
	v_cndmask_b32_e32 v10, v0, v7, vcc
	v_mul_f16_sdwa v7, v39, v11 dst_sel:DWORD dst_unused:UNUSED_PAD src0_sel:WORD_1 src1_sel:DWORD
	v_fma_f16 v7, v39, v3, v7
	v_cvt_f32_f16_e32 v7, v7
	v_cmp_ne_u32_e32 vcc, 0, v6
	v_cndmask_b32_e64 v6, 0, 1, vcc
	v_lshl_or_b32 v12, v6, 9, v0
	v_cvt_f64_f32_e32 v[6:7], v7
	v_cmp_eq_u32_e32 vcc, s10, v8
	v_cndmask_b32_e32 v8, v10, v12, vcc
	v_lshrrev_b32_e32 v9, 16, v9
	v_mul_f64 v[6:7], v[6:7], s[4:5]
	v_and_or_b32 v8, v9, s11, v8
	v_and_b32_e32 v2, 0xffff, v2
	v_add_co_u32_e32 v4, vcc, s2, v4
	v_lshl_or_b32 v2, v8, 16, v2
	v_addc_co_u32_e32 v5, vcc, v5, v1, vcc
	global_store_dword v[4:5], v2, off
	v_and_or_b32 v2, v7, s6, v6
	v_cmp_ne_u32_e32 vcc, 0, v2
	v_cndmask_b32_e64 v2, 0, 1, vcc
	v_lshrrev_b32_e32 v6, 8, v7
	v_bfe_u32 v8, v7, 20, 11
	v_and_or_b32 v6, v6, s7, v2
	v_sub_u32_e32 v9, 0x3f1, v8
	v_or_b32_e32 v2, 0x1000, v6
	v_med3_i32 v9, v9, 0, 13
	v_lshrrev_b32_e32 v10, v9, v2
	v_lshlrev_b32_e32 v9, v9, v10
	v_mul_f16_sdwa v3, v39, v3 dst_sel:DWORD dst_unused:UNUSED_PAD src0_sel:WORD_1 src1_sel:DWORD
	v_cmp_ne_u32_e32 vcc, v9, v2
	v_fma_f16 v3, v39, v11, -v3
	v_cndmask_b32_e64 v2, 0, 1, vcc
	v_add_u32_e32 v8, 0xfffffc10, v8
	v_cvt_f32_f16_e32 v3, v3
	v_or_b32_e32 v2, v10, v2
	v_lshl_or_b32 v9, v8, 12, v6
	v_cmp_gt_i32_e32 vcc, 1, v8
	v_cndmask_b32_e32 v2, v9, v2, vcc
	v_and_b32_e32 v9, 7, v2
	v_cmp_lt_i32_e32 vcc, 5, v9
	v_cmp_eq_u32_e64 s[0:1], 3, v9
	v_lshrrev_b32_e32 v9, 2, v2
	v_cvt_f64_f32_e32 v[2:3], v3
	s_or_b64 vcc, s[0:1], vcc
	v_addc_co_u32_e32 v9, vcc, 0, v9, vcc
	v_mul_f64 v[2:3], v[2:3], s[4:5]
	v_cmp_gt_i32_e32 vcc, 31, v8
	v_cndmask_b32_e32 v9, v0, v9, vcc
	v_cmp_ne_u32_e32 vcc, 0, v6
	v_cndmask_b32_e64 v6, 0, 1, vcc
	v_lshl_or_b32 v6, v6, 9, v0
	v_cmp_eq_u32_e32 vcc, s10, v8
	v_cndmask_b32_e32 v6, v9, v6, vcc
	v_and_or_b32 v2, v3, s6, v2
	v_lshrrev_b32_e32 v7, 16, v7
	v_cmp_ne_u32_e32 vcc, 0, v2
	v_and_or_b32 v10, v7, s11, v6
	v_cndmask_b32_e64 v2, 0, 1, vcc
	v_lshrrev_b32_e32 v6, 8, v3
	v_bfe_u32 v7, v3, 20, 11
	v_and_or_b32 v2, v6, s7, v2
	v_sub_u32_e32 v8, 0x3f1, v7
	v_or_b32_e32 v6, 0x1000, v2
	v_med3_i32 v8, v8, 0, 13
	v_lshrrev_b32_e32 v9, v8, v6
	v_lshlrev_b32_e32 v8, v8, v9
	v_cmp_ne_u32_e32 vcc, v8, v6
	v_cndmask_b32_e64 v6, 0, 1, vcc
	v_add_u32_e32 v11, 0xfffffc10, v7
	v_or_b32_e32 v6, v9, v6
	v_lshl_or_b32 v7, v11, 12, v2
	v_cmp_gt_i32_e32 vcc, 1, v11
	v_cndmask_b32_e32 v6, v7, v6, vcc
	v_and_b32_e32 v7, 7, v6
	v_cmp_lt_i32_e32 vcc, 5, v7
	v_cmp_eq_u32_e64 s[0:1], 3, v7
	v_lshrrev_b32_e32 v8, 2, v6
	ds_read2_b32 v[6:7], v34 offset0:80 offset1:96
	s_or_b64 vcc, s[0:1], vcc
	v_addc_co_u32_e32 v8, vcc, 0, v8, vcc
	v_cmp_gt_i32_e32 vcc, 31, v11
	s_waitcnt lgkmcnt(0)
	v_lshrrev_b32_e32 v13, 16, v6
	v_cndmask_b32_e32 v12, v0, v8, vcc
	v_mul_f16_sdwa v8, v38, v13 dst_sel:DWORD dst_unused:UNUSED_PAD src0_sel:WORD_1 src1_sel:DWORD
	v_fma_f16 v8, v38, v6, v8
	v_cvt_f32_f16_e32 v8, v8
	v_cmp_ne_u32_e32 vcc, 0, v2
	v_cndmask_b32_e64 v2, 0, 1, vcc
	v_lshl_or_b32 v2, v2, 9, v0
	v_cvt_f64_f32_e32 v[8:9], v8
	v_cmp_eq_u32_e32 vcc, s10, v11
	v_cndmask_b32_e32 v2, v12, v2, vcc
	v_lshrrev_b32_e32 v3, 16, v3
	v_and_or_b32 v11, v3, s11, v2
	v_mul_f64 v[2:3], v[8:9], s[4:5]
	v_add_co_u32_e32 v4, vcc, s2, v4
	v_and_b32_e32 v8, 0xffff, v10
	v_addc_co_u32_e32 v5, vcc, v5, v1, vcc
	v_lshl_or_b32 v8, v11, 16, v8
	global_store_dword v[4:5], v8, off
	v_and_or_b32 v2, v3, s6, v2
	v_cmp_ne_u32_e32 vcc, 0, v2
	v_cndmask_b32_e64 v2, 0, 1, vcc
	v_lshrrev_b32_e32 v8, 8, v3
	v_bfe_u32 v9, v3, 20, 11
	v_and_or_b32 v2, v8, s7, v2
	v_sub_u32_e32 v10, 0x3f1, v9
	v_or_b32_e32 v8, 0x1000, v2
	v_med3_i32 v10, v10, 0, 13
	v_lshrrev_b32_e32 v11, v10, v8
	v_lshlrev_b32_e32 v10, v10, v11
	v_mul_f16_sdwa v6, v38, v6 dst_sel:DWORD dst_unused:UNUSED_PAD src0_sel:WORD_1 src1_sel:DWORD
	v_cmp_ne_u32_e32 vcc, v10, v8
	v_fma_f16 v6, v38, v13, -v6
	v_cndmask_b32_e64 v8, 0, 1, vcc
	v_add_u32_e32 v10, 0xfffffc10, v9
	v_cvt_f32_f16_e32 v6, v6
	v_or_b32_e32 v8, v11, v8
	v_lshl_or_b32 v9, v10, 12, v2
	v_cmp_gt_i32_e32 vcc, 1, v10
	v_cndmask_b32_e32 v8, v9, v8, vcc
	v_and_b32_e32 v9, 7, v8
	v_cmp_lt_i32_e32 vcc, 5, v9
	v_cmp_eq_u32_e64 s[0:1], 3, v9
	v_lshrrev_b32_e32 v11, 2, v8
	v_cvt_f64_f32_e32 v[8:9], v6
	s_or_b64 vcc, s[0:1], vcc
	v_addc_co_u32_e32 v6, vcc, 0, v11, vcc
	v_mul_f64 v[8:9], v[8:9], s[4:5]
	v_cmp_gt_i32_e32 vcc, 31, v10
	v_cndmask_b32_e32 v6, v0, v6, vcc
	v_cmp_ne_u32_e32 vcc, 0, v2
	v_cndmask_b32_e64 v2, 0, 1, vcc
	v_lshl_or_b32 v2, v2, 9, v0
	v_cmp_eq_u32_e32 vcc, s10, v10
	v_cndmask_b32_e32 v2, v6, v2, vcc
	v_lshrrev_b32_e32 v3, 16, v3
	v_and_or_b32 v6, v3, s11, v2
	v_and_or_b32 v2, v9, s6, v8
	v_cmp_ne_u32_e32 vcc, 0, v2
	v_cndmask_b32_e64 v2, 0, 1, vcc
	v_lshrrev_b32_e32 v3, 8, v9
	v_bfe_u32 v8, v9, 20, 11
	v_and_or_b32 v2, v3, s7, v2
	v_sub_u32_e32 v10, 0x3f1, v8
	v_or_b32_e32 v3, 0x1000, v2
	v_med3_i32 v10, v10, 0, 13
	v_lshrrev_b32_e32 v11, v10, v3
	v_lshlrev_b32_e32 v10, v10, v11
	v_cmp_ne_u32_e32 vcc, v10, v3
	v_cndmask_b32_e64 v3, 0, 1, vcc
	v_add_u32_e32 v8, 0xfffffc10, v8
	v_or_b32_e32 v3, v11, v3
	v_lshl_or_b32 v10, v8, 12, v2
	v_cmp_gt_i32_e32 vcc, 1, v8
	v_cndmask_b32_e32 v3, v10, v3, vcc
	v_and_b32_e32 v10, 7, v3
	v_cmp_lt_i32_e32 vcc, 5, v10
	v_cmp_eq_u32_e64 s[0:1], 3, v10
	v_lshrrev_b32_e32 v3, 2, v3
	s_or_b64 vcc, s[0:1], vcc
	v_addc_co_u32_e32 v3, vcc, 0, v3, vcc
	v_cmp_gt_i32_e32 vcc, 31, v8
	v_lshrrev_b32_e32 v11, 16, v7
	v_cndmask_b32_e32 v10, v0, v3, vcc
	v_mul_f16_sdwa v3, v37, v11 dst_sel:DWORD dst_unused:UNUSED_PAD src0_sel:WORD_1 src1_sel:DWORD
	v_fma_f16 v3, v37, v7, v3
	v_cvt_f32_f16_e32 v3, v3
	v_cmp_ne_u32_e32 vcc, 0, v2
	v_cndmask_b32_e64 v2, 0, 1, vcc
	v_lshl_or_b32 v12, v2, 9, v0
	v_cvt_f64_f32_e32 v[2:3], v3
	v_cmp_eq_u32_e32 vcc, s10, v8
	v_cndmask_b32_e32 v8, v10, v12, vcc
	v_lshrrev_b32_e32 v9, 16, v9
	v_mul_f64 v[2:3], v[2:3], s[4:5]
	v_add_co_u32_e32 v4, vcc, s2, v4
	v_and_or_b32 v8, v9, s11, v8
	v_and_b32_e32 v6, 0xffff, v6
	v_addc_co_u32_e32 v5, vcc, v5, v1, vcc
	v_lshl_or_b32 v6, v8, 16, v6
	v_and_or_b32 v2, v3, s6, v2
	v_cmp_ne_u32_e32 vcc, 0, v2
	global_store_dword v[4:5], v6, off
	v_cndmask_b32_e64 v2, 0, 1, vcc
	v_lshrrev_b32_e32 v6, 8, v3
	v_bfe_u32 v8, v3, 20, 11
	v_and_or_b32 v2, v6, s7, v2
	v_sub_u32_e32 v9, 0x3f1, v8
	v_or_b32_e32 v6, 0x1000, v2
	v_med3_i32 v9, v9, 0, 13
	v_lshrrev_b32_e32 v10, v9, v6
	v_lshlrev_b32_e32 v9, v9, v10
	v_mul_f16_sdwa v7, v37, v7 dst_sel:DWORD dst_unused:UNUSED_PAD src0_sel:WORD_1 src1_sel:DWORD
	v_cmp_ne_u32_e32 vcc, v9, v6
	v_fma_f16 v7, v37, v11, -v7
	v_cndmask_b32_e64 v6, 0, 1, vcc
	v_add_u32_e32 v8, 0xfffffc10, v8
	v_cvt_f32_f16_e32 v7, v7
	v_or_b32_e32 v6, v10, v6
	v_lshl_or_b32 v9, v8, 12, v2
	v_cmp_gt_i32_e32 vcc, 1, v8
	v_cndmask_b32_e32 v6, v9, v6, vcc
	v_and_b32_e32 v9, 7, v6
	v_cmp_lt_i32_e32 vcc, 5, v9
	v_cmp_eq_u32_e64 s[0:1], 3, v9
	v_lshrrev_b32_e32 v9, 2, v6
	v_cvt_f64_f32_e32 v[6:7], v7
	s_or_b64 vcc, s[0:1], vcc
	v_addc_co_u32_e32 v9, vcc, 0, v9, vcc
	v_mul_f64 v[6:7], v[6:7], s[4:5]
	v_cmp_gt_i32_e32 vcc, 31, v8
	v_cndmask_b32_e32 v9, v0, v9, vcc
	v_cmp_ne_u32_e32 vcc, 0, v2
	v_cndmask_b32_e64 v2, 0, 1, vcc
	v_lshl_or_b32 v2, v2, 9, v0
	v_cmp_eq_u32_e32 vcc, s10, v8
	v_cndmask_b32_e32 v2, v9, v2, vcc
	v_lshrrev_b32_e32 v3, 16, v3
	v_and_or_b32 v10, v3, s11, v2
	v_and_or_b32 v2, v7, s6, v6
	v_cmp_ne_u32_e32 vcc, 0, v2
	v_cndmask_b32_e64 v2, 0, 1, vcc
	v_lshrrev_b32_e32 v3, 8, v7
	v_and_or_b32 v6, v3, s7, v2
	v_bfe_u32 v3, v7, 20, 11
	v_sub_u32_e32 v8, 0x3f1, v3
	v_or_b32_e32 v2, 0x1000, v6
	v_med3_i32 v8, v8, 0, 13
	v_lshrrev_b32_e32 v9, v8, v2
	v_lshlrev_b32_e32 v8, v8, v9
	v_cmp_ne_u32_e32 vcc, v8, v2
	v_cndmask_b32_e64 v2, 0, 1, vcc
	v_add_u32_e32 v11, 0xfffffc10, v3
	v_or_b32_e32 v2, v9, v2
	v_lshl_or_b32 v3, v11, 12, v6
	v_cmp_gt_i32_e32 vcc, 1, v11
	v_cndmask_b32_e32 v2, v3, v2, vcc
	v_and_b32_e32 v3, 7, v2
	v_cmp_lt_i32_e32 vcc, 5, v3
	v_cmp_eq_u32_e64 s[0:1], 3, v3
	v_lshrrev_b32_e32 v8, 2, v2
	ds_read2_b32 v[2:3], v34 offset0:112 offset1:128
	s_or_b64 vcc, s[0:1], vcc
	v_addc_co_u32_e32 v8, vcc, 0, v8, vcc
	v_cmp_gt_i32_e32 vcc, 31, v11
	s_waitcnt lgkmcnt(0)
	v_lshrrev_b32_e32 v13, 16, v2
	v_cndmask_b32_e32 v12, v0, v8, vcc
	v_mul_f16_sdwa v8, v36, v13 dst_sel:DWORD dst_unused:UNUSED_PAD src0_sel:WORD_1 src1_sel:DWORD
	v_fma_f16 v8, v36, v2, v8
	v_cvt_f32_f16_e32 v8, v8
	v_cmp_ne_u32_e32 vcc, 0, v6
	v_cndmask_b32_e64 v6, 0, 1, vcc
	v_lshl_or_b32 v6, v6, 9, v0
	v_cvt_f64_f32_e32 v[8:9], v8
	v_cmp_eq_u32_e32 vcc, s10, v11
	v_cndmask_b32_e32 v6, v12, v6, vcc
	v_lshrrev_b32_e32 v7, 16, v7
	v_and_or_b32 v11, v7, s11, v6
	v_mul_f64 v[6:7], v[8:9], s[4:5]
	v_add_co_u32_e32 v4, vcc, s2, v4
	v_and_b32_e32 v8, 0xffff, v10
	v_addc_co_u32_e32 v5, vcc, v5, v1, vcc
	v_lshl_or_b32 v8, v11, 16, v8
	global_store_dword v[4:5], v8, off
	v_and_or_b32 v6, v7, s6, v6
	v_cmp_ne_u32_e32 vcc, 0, v6
	v_cndmask_b32_e64 v6, 0, 1, vcc
	v_lshrrev_b32_e32 v8, 8, v7
	v_bfe_u32 v9, v7, 20, 11
	v_and_or_b32 v6, v8, s7, v6
	v_sub_u32_e32 v10, 0x3f1, v9
	v_or_b32_e32 v8, 0x1000, v6
	v_med3_i32 v10, v10, 0, 13
	v_lshrrev_b32_e32 v11, v10, v8
	v_lshlrev_b32_e32 v10, v10, v11
	v_mul_f16_sdwa v2, v36, v2 dst_sel:DWORD dst_unused:UNUSED_PAD src0_sel:WORD_1 src1_sel:DWORD
	v_cmp_ne_u32_e32 vcc, v10, v8
	v_fma_f16 v2, v36, v13, -v2
	v_cndmask_b32_e64 v8, 0, 1, vcc
	v_add_u32_e32 v10, 0xfffffc10, v9
	v_cvt_f32_f16_e32 v2, v2
	v_or_b32_e32 v8, v11, v8
	v_lshl_or_b32 v9, v10, 12, v6
	v_cmp_gt_i32_e32 vcc, 1, v10
	v_cndmask_b32_e32 v8, v9, v8, vcc
	v_and_b32_e32 v9, 7, v8
	v_cmp_lt_i32_e32 vcc, 5, v9
	v_cmp_eq_u32_e64 s[0:1], 3, v9
	v_lshrrev_b32_e32 v11, 2, v8
	v_cvt_f64_f32_e32 v[8:9], v2
	s_or_b64 vcc, s[0:1], vcc
	v_addc_co_u32_e32 v2, vcc, 0, v11, vcc
	v_mul_f64 v[8:9], v[8:9], s[4:5]
	v_cmp_gt_i32_e32 vcc, 31, v10
	v_cndmask_b32_e32 v2, v0, v2, vcc
	v_cmp_ne_u32_e32 vcc, 0, v6
	v_cndmask_b32_e64 v6, 0, 1, vcc
	v_lshl_or_b32 v6, v6, 9, v0
	v_cmp_eq_u32_e32 vcc, s10, v10
	v_cndmask_b32_e32 v2, v2, v6, vcc
	v_lshrrev_b32_e32 v6, 16, v7
	v_and_or_b32 v2, v6, s11, v2
	v_and_or_b32 v6, v9, s6, v8
	v_cmp_ne_u32_e32 vcc, 0, v6
	v_cndmask_b32_e64 v6, 0, 1, vcc
	v_lshrrev_b32_e32 v7, 8, v9
	v_bfe_u32 v8, v9, 20, 11
	v_and_or_b32 v6, v7, s7, v6
	v_sub_u32_e32 v10, 0x3f1, v8
	v_or_b32_e32 v7, 0x1000, v6
	v_med3_i32 v10, v10, 0, 13
	v_lshrrev_b32_e32 v11, v10, v7
	v_lshlrev_b32_e32 v10, v10, v11
	v_cmp_ne_u32_e32 vcc, v10, v7
	v_cndmask_b32_e64 v7, 0, 1, vcc
	v_add_u32_e32 v8, 0xfffffc10, v8
	v_or_b32_e32 v7, v11, v7
	v_lshl_or_b32 v10, v8, 12, v6
	v_cmp_gt_i32_e32 vcc, 1, v8
	v_cndmask_b32_e32 v7, v10, v7, vcc
	v_and_b32_e32 v10, 7, v7
	v_cmp_lt_i32_e32 vcc, 5, v10
	v_cmp_eq_u32_e64 s[0:1], 3, v10
	v_lshrrev_b32_e32 v7, 2, v7
	s_or_b64 vcc, s[0:1], vcc
	v_addc_co_u32_e32 v7, vcc, 0, v7, vcc
	v_cmp_gt_i32_e32 vcc, 31, v8
	v_lshrrev_b32_e32 v11, 16, v3
	v_cndmask_b32_e32 v10, v0, v7, vcc
	v_mul_f16_sdwa v7, v35, v11 dst_sel:DWORD dst_unused:UNUSED_PAD src0_sel:WORD_1 src1_sel:DWORD
	v_fma_f16 v7, v35, v3, v7
	v_cvt_f32_f16_e32 v7, v7
	v_cmp_ne_u32_e32 vcc, 0, v6
	v_cndmask_b32_e64 v6, 0, 1, vcc
	v_lshl_or_b32 v12, v6, 9, v0
	v_cvt_f64_f32_e32 v[6:7], v7
	v_cmp_eq_u32_e32 vcc, s10, v8
	v_cndmask_b32_e32 v8, v10, v12, vcc
	v_lshrrev_b32_e32 v9, 16, v9
	v_mul_f64 v[6:7], v[6:7], s[4:5]
	v_and_or_b32 v8, v9, s11, v8
	v_and_b32_e32 v2, 0xffff, v2
	v_add_co_u32_e32 v4, vcc, s2, v4
	v_lshl_or_b32 v2, v8, 16, v2
	v_addc_co_u32_e32 v5, vcc, v5, v1, vcc
	global_store_dword v[4:5], v2, off
	v_and_or_b32 v2, v7, s6, v6
	v_cmp_ne_u32_e32 vcc, 0, v2
	v_cndmask_b32_e64 v2, 0, 1, vcc
	v_lshrrev_b32_e32 v6, 8, v7
	v_bfe_u32 v8, v7, 20, 11
	v_and_or_b32 v6, v6, s7, v2
	v_sub_u32_e32 v9, 0x3f1, v8
	v_or_b32_e32 v2, 0x1000, v6
	v_med3_i32 v9, v9, 0, 13
	v_lshrrev_b32_e32 v10, v9, v2
	v_lshlrev_b32_e32 v9, v9, v10
	v_mul_f16_sdwa v3, v35, v3 dst_sel:DWORD dst_unused:UNUSED_PAD src0_sel:WORD_1 src1_sel:DWORD
	v_cmp_ne_u32_e32 vcc, v9, v2
	v_fma_f16 v3, v35, v11, -v3
	v_cndmask_b32_e64 v2, 0, 1, vcc
	v_add_u32_e32 v8, 0xfffffc10, v8
	v_cvt_f32_f16_e32 v3, v3
	v_or_b32_e32 v2, v10, v2
	v_lshl_or_b32 v9, v8, 12, v6
	v_cmp_gt_i32_e32 vcc, 1, v8
	v_cndmask_b32_e32 v2, v9, v2, vcc
	v_and_b32_e32 v9, 7, v2
	v_cmp_lt_i32_e32 vcc, 5, v9
	v_cmp_eq_u32_e64 s[0:1], 3, v9
	v_lshrrev_b32_e32 v9, 2, v2
	v_cvt_f64_f32_e32 v[2:3], v3
	s_or_b64 vcc, s[0:1], vcc
	v_addc_co_u32_e32 v9, vcc, 0, v9, vcc
	v_mul_f64 v[2:3], v[2:3], s[4:5]
	v_cmp_gt_i32_e32 vcc, 31, v8
	v_cndmask_b32_e32 v9, v0, v9, vcc
	v_cmp_ne_u32_e32 vcc, 0, v6
	v_cndmask_b32_e64 v6, 0, 1, vcc
	v_lshl_or_b32 v6, v6, 9, v0
	v_cmp_eq_u32_e32 vcc, s10, v8
	v_cndmask_b32_e32 v6, v9, v6, vcc
	v_and_or_b32 v2, v3, s6, v2
	v_lshrrev_b32_e32 v7, 16, v7
	v_cmp_ne_u32_e32 vcc, 0, v2
	v_and_or_b32 v10, v7, s11, v6
	v_cndmask_b32_e64 v2, 0, 1, vcc
	v_lshrrev_b32_e32 v6, 8, v3
	v_bfe_u32 v7, v3, 20, 11
	v_and_or_b32 v2, v6, s7, v2
	v_sub_u32_e32 v8, 0x3f1, v7
	v_or_b32_e32 v6, 0x1000, v2
	v_med3_i32 v8, v8, 0, 13
	v_lshrrev_b32_e32 v9, v8, v6
	v_lshlrev_b32_e32 v8, v8, v9
	v_cmp_ne_u32_e32 vcc, v8, v6
	v_cndmask_b32_e64 v6, 0, 1, vcc
	v_add_u32_e32 v11, 0xfffffc10, v7
	v_or_b32_e32 v6, v9, v6
	v_lshl_or_b32 v7, v11, 12, v2
	v_cmp_gt_i32_e32 vcc, 1, v11
	v_cndmask_b32_e32 v6, v7, v6, vcc
	v_and_b32_e32 v7, 7, v6
	v_cmp_lt_i32_e32 vcc, 5, v7
	v_cmp_eq_u32_e64 s[0:1], 3, v7
	v_lshrrev_b32_e32 v8, 2, v6
	ds_read2_b32 v[6:7], v34 offset0:144 offset1:160
	s_or_b64 vcc, s[0:1], vcc
	v_addc_co_u32_e32 v8, vcc, 0, v8, vcc
	v_cmp_gt_i32_e32 vcc, 31, v11
	s_waitcnt lgkmcnt(0)
	v_lshrrev_b32_e32 v13, 16, v6
	v_cndmask_b32_e32 v12, v0, v8, vcc
	v_mul_f16_sdwa v8, v33, v13 dst_sel:DWORD dst_unused:UNUSED_PAD src0_sel:WORD_1 src1_sel:DWORD
	v_fma_f16 v8, v33, v6, v8
	v_cvt_f32_f16_e32 v8, v8
	v_cmp_ne_u32_e32 vcc, 0, v2
	v_cndmask_b32_e64 v2, 0, 1, vcc
	v_lshl_or_b32 v2, v2, 9, v0
	v_cvt_f64_f32_e32 v[8:9], v8
	v_cmp_eq_u32_e32 vcc, s10, v11
	v_cndmask_b32_e32 v2, v12, v2, vcc
	v_lshrrev_b32_e32 v3, 16, v3
	v_and_or_b32 v11, v3, s11, v2
	v_mul_f64 v[2:3], v[8:9], s[4:5]
	v_add_co_u32_e32 v4, vcc, s2, v4
	v_and_b32_e32 v8, 0xffff, v10
	v_addc_co_u32_e32 v5, vcc, v5, v1, vcc
	v_lshl_or_b32 v8, v11, 16, v8
	global_store_dword v[4:5], v8, off
	v_and_or_b32 v2, v3, s6, v2
	v_cmp_ne_u32_e32 vcc, 0, v2
	v_cndmask_b32_e64 v2, 0, 1, vcc
	v_lshrrev_b32_e32 v8, 8, v3
	v_bfe_u32 v9, v3, 20, 11
	v_and_or_b32 v2, v8, s7, v2
	v_sub_u32_e32 v10, 0x3f1, v9
	v_or_b32_e32 v8, 0x1000, v2
	v_med3_i32 v10, v10, 0, 13
	v_lshrrev_b32_e32 v11, v10, v8
	v_lshlrev_b32_e32 v10, v10, v11
	v_mul_f16_sdwa v6, v33, v6 dst_sel:DWORD dst_unused:UNUSED_PAD src0_sel:WORD_1 src1_sel:DWORD
	v_cmp_ne_u32_e32 vcc, v10, v8
	v_fma_f16 v6, v33, v13, -v6
	v_cndmask_b32_e64 v8, 0, 1, vcc
	v_add_u32_e32 v10, 0xfffffc10, v9
	v_cvt_f32_f16_e32 v6, v6
	v_or_b32_e32 v8, v11, v8
	v_lshl_or_b32 v9, v10, 12, v2
	v_cmp_gt_i32_e32 vcc, 1, v10
	v_cndmask_b32_e32 v8, v9, v8, vcc
	v_and_b32_e32 v9, 7, v8
	v_cmp_lt_i32_e32 vcc, 5, v9
	v_cmp_eq_u32_e64 s[0:1], 3, v9
	v_lshrrev_b32_e32 v11, 2, v8
	v_cvt_f64_f32_e32 v[8:9], v6
	s_or_b64 vcc, s[0:1], vcc
	v_addc_co_u32_e32 v6, vcc, 0, v11, vcc
	v_mul_f64 v[8:9], v[8:9], s[4:5]
	v_cmp_gt_i32_e32 vcc, 31, v10
	v_cndmask_b32_e32 v6, v0, v6, vcc
	v_cmp_ne_u32_e32 vcc, 0, v2
	v_cndmask_b32_e64 v2, 0, 1, vcc
	v_lshl_or_b32 v2, v2, 9, v0
	v_cmp_eq_u32_e32 vcc, s10, v10
	v_cndmask_b32_e32 v2, v6, v2, vcc
	v_lshrrev_b32_e32 v3, 16, v3
	v_and_or_b32 v6, v3, s11, v2
	v_and_or_b32 v2, v9, s6, v8
	v_cmp_ne_u32_e32 vcc, 0, v2
	v_cndmask_b32_e64 v2, 0, 1, vcc
	v_lshrrev_b32_e32 v3, 8, v9
	v_bfe_u32 v8, v9, 20, 11
	v_and_or_b32 v2, v3, s7, v2
	v_sub_u32_e32 v10, 0x3f1, v8
	v_or_b32_e32 v3, 0x1000, v2
	v_med3_i32 v10, v10, 0, 13
	v_lshrrev_b32_e32 v11, v10, v3
	v_lshlrev_b32_e32 v10, v10, v11
	v_cmp_ne_u32_e32 vcc, v10, v3
	v_cndmask_b32_e64 v3, 0, 1, vcc
	v_add_u32_e32 v8, 0xfffffc10, v8
	v_or_b32_e32 v3, v11, v3
	v_lshl_or_b32 v10, v8, 12, v2
	v_cmp_gt_i32_e32 vcc, 1, v8
	v_cndmask_b32_e32 v3, v10, v3, vcc
	v_and_b32_e32 v10, 7, v3
	v_cmp_lt_i32_e32 vcc, 5, v10
	v_cmp_eq_u32_e64 s[0:1], 3, v10
	v_lshrrev_b32_e32 v3, 2, v3
	s_or_b64 vcc, s[0:1], vcc
	v_addc_co_u32_e32 v3, vcc, 0, v3, vcc
	v_cmp_gt_i32_e32 vcc, 31, v8
	v_lshrrev_b32_e32 v11, 16, v7
	v_cndmask_b32_e32 v10, v0, v3, vcc
	v_mul_f16_sdwa v3, v32, v11 dst_sel:DWORD dst_unused:UNUSED_PAD src0_sel:WORD_1 src1_sel:DWORD
	v_fma_f16 v3, v32, v7, v3
	v_cvt_f32_f16_e32 v3, v3
	v_cmp_ne_u32_e32 vcc, 0, v2
	v_cndmask_b32_e64 v2, 0, 1, vcc
	v_lshl_or_b32 v12, v2, 9, v0
	v_cvt_f64_f32_e32 v[2:3], v3
	v_cmp_eq_u32_e32 vcc, s10, v8
	v_cndmask_b32_e32 v8, v10, v12, vcc
	v_lshrrev_b32_e32 v9, 16, v9
	v_mul_f64 v[2:3], v[2:3], s[4:5]
	v_add_co_u32_e32 v4, vcc, s2, v4
	v_and_or_b32 v8, v9, s11, v8
	v_and_b32_e32 v6, 0xffff, v6
	v_addc_co_u32_e32 v5, vcc, v5, v1, vcc
	v_lshl_or_b32 v6, v8, 16, v6
	v_and_or_b32 v2, v3, s6, v2
	v_cmp_ne_u32_e32 vcc, 0, v2
	global_store_dword v[4:5], v6, off
	v_cndmask_b32_e64 v2, 0, 1, vcc
	v_lshrrev_b32_e32 v6, 8, v3
	v_bfe_u32 v8, v3, 20, 11
	v_and_or_b32 v2, v6, s7, v2
	v_sub_u32_e32 v9, 0x3f1, v8
	v_or_b32_e32 v6, 0x1000, v2
	v_med3_i32 v9, v9, 0, 13
	v_lshrrev_b32_e32 v10, v9, v6
	v_lshlrev_b32_e32 v9, v9, v10
	v_mul_f16_sdwa v7, v32, v7 dst_sel:DWORD dst_unused:UNUSED_PAD src0_sel:WORD_1 src1_sel:DWORD
	v_cmp_ne_u32_e32 vcc, v9, v6
	v_fma_f16 v7, v32, v11, -v7
	v_cndmask_b32_e64 v6, 0, 1, vcc
	v_add_u32_e32 v8, 0xfffffc10, v8
	v_cvt_f32_f16_e32 v7, v7
	v_or_b32_e32 v6, v10, v6
	v_lshl_or_b32 v9, v8, 12, v2
	v_cmp_gt_i32_e32 vcc, 1, v8
	v_cndmask_b32_e32 v6, v9, v6, vcc
	v_and_b32_e32 v9, 7, v6
	v_cmp_lt_i32_e32 vcc, 5, v9
	v_cmp_eq_u32_e64 s[0:1], 3, v9
	v_lshrrev_b32_e32 v9, 2, v6
	v_cvt_f64_f32_e32 v[6:7], v7
	s_or_b64 vcc, s[0:1], vcc
	v_addc_co_u32_e32 v9, vcc, 0, v9, vcc
	v_mul_f64 v[6:7], v[6:7], s[4:5]
	v_cmp_gt_i32_e32 vcc, 31, v8
	v_cndmask_b32_e32 v9, v0, v9, vcc
	v_cmp_ne_u32_e32 vcc, 0, v2
	v_cndmask_b32_e64 v2, 0, 1, vcc
	v_lshl_or_b32 v2, v2, 9, v0
	v_cmp_eq_u32_e32 vcc, s10, v8
	v_cndmask_b32_e32 v2, v9, v2, vcc
	v_lshrrev_b32_e32 v3, 16, v3
	v_and_or_b32 v2, v3, s11, v2
	v_and_or_b32 v3, v7, s6, v6
	v_cmp_ne_u32_e32 vcc, 0, v3
	v_cndmask_b32_e64 v3, 0, 1, vcc
	v_lshrrev_b32_e32 v6, 8, v7
	v_bfe_u32 v8, v7, 20, 11
	v_and_or_b32 v3, v6, s7, v3
	v_sub_u32_e32 v9, 0x3f1, v8
	v_or_b32_e32 v6, 0x1000, v3
	v_med3_i32 v9, v9, 0, 13
	v_lshrrev_b32_e32 v10, v9, v6
	v_lshlrev_b32_e32 v9, v9, v10
	v_cmp_ne_u32_e32 vcc, v9, v6
	v_cndmask_b32_e64 v6, 0, 1, vcc
	v_add_u32_e32 v8, 0xfffffc10, v8
	v_or_b32_e32 v6, v10, v6
	v_lshl_or_b32 v9, v8, 12, v3
	v_cmp_gt_i32_e32 vcc, 1, v8
	v_cndmask_b32_e32 v6, v9, v6, vcc
	v_and_b32_e32 v9, 7, v6
	v_cmp_lt_i32_e32 vcc, 5, v9
	v_cmp_eq_u32_e64 s[0:1], 3, v9
	v_lshrrev_b32_e32 v6, 2, v6
	s_or_b64 vcc, s[0:1], vcc
	v_addc_co_u32_e32 v6, vcc, 0, v6, vcc
	v_cmp_gt_i32_e32 vcc, 31, v8
	v_cndmask_b32_e32 v6, v0, v6, vcc
	v_cmp_ne_u32_e32 vcc, 0, v3
	v_cndmask_b32_e64 v3, 0, 1, vcc
	v_lshl_or_b32 v0, v3, 9, v0
	v_cmp_eq_u32_e32 vcc, s10, v8
	v_cndmask_b32_e32 v0, v6, v0, vcc
	v_lshrrev_b32_e32 v3, 16, v7
	v_and_or_b32 v0, v3, s11, v0
	v_and_b32_e32 v2, 0xffff, v2
	v_lshl_or_b32 v2, v0, 16, v2
	v_add_co_u32_e32 v0, vcc, s2, v4
	v_addc_co_u32_e32 v1, vcc, v5, v1, vcc
	global_store_dword v[0:1], v2, off
.LBB0_10:
	s_endpgm
	.section	.rodata,"a",@progbits
	.p2align	6, 0x0
	.amdhsa_kernel bluestein_single_back_len176_dim1_half_op_CI_CI
		.amdhsa_group_segment_fixed_size 2816
		.amdhsa_private_segment_fixed_size 0
		.amdhsa_kernarg_size 104
		.amdhsa_user_sgpr_count 6
		.amdhsa_user_sgpr_private_segment_buffer 1
		.amdhsa_user_sgpr_dispatch_ptr 0
		.amdhsa_user_sgpr_queue_ptr 0
		.amdhsa_user_sgpr_kernarg_segment_ptr 1
		.amdhsa_user_sgpr_dispatch_id 0
		.amdhsa_user_sgpr_flat_scratch_init 0
		.amdhsa_user_sgpr_private_segment_size 0
		.amdhsa_uses_dynamic_stack 0
		.amdhsa_system_sgpr_private_segment_wavefront_offset 0
		.amdhsa_system_sgpr_workgroup_id_x 1
		.amdhsa_system_sgpr_workgroup_id_y 0
		.amdhsa_system_sgpr_workgroup_id_z 0
		.amdhsa_system_sgpr_workgroup_info 0
		.amdhsa_system_vgpr_workitem_id 0
		.amdhsa_next_free_vgpr 82
		.amdhsa_next_free_sgpr 22
		.amdhsa_reserve_vcc 1
		.amdhsa_reserve_flat_scratch 0
		.amdhsa_float_round_mode_32 0
		.amdhsa_float_round_mode_16_64 0
		.amdhsa_float_denorm_mode_32 3
		.amdhsa_float_denorm_mode_16_64 3
		.amdhsa_dx10_clamp 1
		.amdhsa_ieee_mode 1
		.amdhsa_fp16_overflow 0
		.amdhsa_exception_fp_ieee_invalid_op 0
		.amdhsa_exception_fp_denorm_src 0
		.amdhsa_exception_fp_ieee_div_zero 0
		.amdhsa_exception_fp_ieee_overflow 0
		.amdhsa_exception_fp_ieee_underflow 0
		.amdhsa_exception_fp_ieee_inexact 0
		.amdhsa_exception_int_div_zero 0
	.end_amdhsa_kernel
	.text
.Lfunc_end0:
	.size	bluestein_single_back_len176_dim1_half_op_CI_CI, .Lfunc_end0-bluestein_single_back_len176_dim1_half_op_CI_CI
                                        ; -- End function
	.section	.AMDGPU.csdata,"",@progbits
; Kernel info:
; codeLenInByte = 15228
; NumSgprs: 26
; NumVgprs: 82
; ScratchSize: 0
; MemoryBound: 0
; FloatMode: 240
; IeeeMode: 1
; LDSByteSize: 2816 bytes/workgroup (compile time only)
; SGPRBlocks: 3
; VGPRBlocks: 20
; NumSGPRsForWavesPerEU: 26
; NumVGPRsForWavesPerEU: 82
; Occupancy: 3
; WaveLimiterHint : 1
; COMPUTE_PGM_RSRC2:SCRATCH_EN: 0
; COMPUTE_PGM_RSRC2:USER_SGPR: 6
; COMPUTE_PGM_RSRC2:TRAP_HANDLER: 0
; COMPUTE_PGM_RSRC2:TGID_X_EN: 1
; COMPUTE_PGM_RSRC2:TGID_Y_EN: 0
; COMPUTE_PGM_RSRC2:TGID_Z_EN: 0
; COMPUTE_PGM_RSRC2:TIDIG_COMP_CNT: 0
	.type	__hip_cuid_9bdb3996641cfea9,@object ; @__hip_cuid_9bdb3996641cfea9
	.section	.bss,"aw",@nobits
	.globl	__hip_cuid_9bdb3996641cfea9
__hip_cuid_9bdb3996641cfea9:
	.byte	0                               ; 0x0
	.size	__hip_cuid_9bdb3996641cfea9, 1

	.ident	"AMD clang version 19.0.0git (https://github.com/RadeonOpenCompute/llvm-project roc-6.4.0 25133 c7fe45cf4b819c5991fe208aaa96edf142730f1d)"
	.section	".note.GNU-stack","",@progbits
	.addrsig
	.addrsig_sym __hip_cuid_9bdb3996641cfea9
	.amdgpu_metadata
---
amdhsa.kernels:
  - .args:
      - .actual_access:  read_only
        .address_space:  global
        .offset:         0
        .size:           8
        .value_kind:     global_buffer
      - .actual_access:  read_only
        .address_space:  global
        .offset:         8
        .size:           8
        .value_kind:     global_buffer
      - .actual_access:  read_only
        .address_space:  global
        .offset:         16
        .size:           8
        .value_kind:     global_buffer
      - .actual_access:  read_only
        .address_space:  global
        .offset:         24
        .size:           8
        .value_kind:     global_buffer
      - .actual_access:  read_only
        .address_space:  global
        .offset:         32
        .size:           8
        .value_kind:     global_buffer
      - .offset:         40
        .size:           8
        .value_kind:     by_value
      - .address_space:  global
        .offset:         48
        .size:           8
        .value_kind:     global_buffer
      - .address_space:  global
        .offset:         56
        .size:           8
        .value_kind:     global_buffer
      - .address_space:  global
        .offset:         64
        .size:           8
        .value_kind:     global_buffer
      - .address_space:  global
        .offset:         72
        .size:           8
        .value_kind:     global_buffer
      - .offset:         80
        .size:           4
        .value_kind:     by_value
      - .address_space:  global
        .offset:         88
        .size:           8
        .value_kind:     global_buffer
      - .address_space:  global
        .offset:         96
        .size:           8
        .value_kind:     global_buffer
    .group_segment_fixed_size: 2816
    .kernarg_segment_align: 8
    .kernarg_segment_size: 104
    .language:       OpenCL C
    .language_version:
      - 2
      - 0
    .max_flat_workgroup_size: 64
    .name:           bluestein_single_back_len176_dim1_half_op_CI_CI
    .private_segment_fixed_size: 0
    .sgpr_count:     26
    .sgpr_spill_count: 0
    .symbol:         bluestein_single_back_len176_dim1_half_op_CI_CI.kd
    .uniform_work_group_size: 1
    .uses_dynamic_stack: false
    .vgpr_count:     82
    .vgpr_spill_count: 0
    .wavefront_size: 64
amdhsa.target:   amdgcn-amd-amdhsa--gfx906
amdhsa.version:
  - 1
  - 2
...

	.end_amdgpu_metadata
